;; amdgpu-corpus repo=ROCm/vllm kind=compiled arch=gfx1250 opt=O3
	.amdgcn_target "amdgcn-amd-amdhsa--gfx1250"
	.amdhsa_code_object_version 6
	.section	.text._ZN4vllm32rms_norm_static_fp8_quant_kernelIfN3c1013Float8_e4m3fnEEEvPT0_PKT_iS7_PKffii,"axG",@progbits,_ZN4vllm32rms_norm_static_fp8_quant_kernelIfN3c1013Float8_e4m3fnEEEvPT0_PKT_iS7_PKffii,comdat
	.protected	_ZN4vllm32rms_norm_static_fp8_quant_kernelIfN3c1013Float8_e4m3fnEEEvPT0_PKT_iS7_PKffii ; -- Begin function _ZN4vllm32rms_norm_static_fp8_quant_kernelIfN3c1013Float8_e4m3fnEEEvPT0_PKT_iS7_PKffii
	.globl	_ZN4vllm32rms_norm_static_fp8_quant_kernelIfN3c1013Float8_e4m3fnEEEvPT0_PKT_iS7_PKffii
	.p2align	8
	.type	_ZN4vllm32rms_norm_static_fp8_quant_kernelIfN3c1013Float8_e4m3fnEEEvPT0_PKT_iS7_PKffii,@function
_ZN4vllm32rms_norm_static_fp8_quant_kernelIfN3c1013Float8_e4m3fnEEEvPT0_PKT_iS7_PKffii: ; @_ZN4vllm32rms_norm_static_fp8_quant_kernelIfN3c1013Float8_e4m3fnEEEvPT0_PKT_iS7_PKffii
; %bb.0:
	s_clause 0x1
	s_load_b32 s12, s[0:1], 0x30
	s_load_b64 s[8:9], s[0:1], 0x8
	s_getreg_b32 s14, hwreg(HW_REG_IB_STS2, 6, 4)
	s_mov_b32 s3, exec_lo
                                        ; implicit-def: $sgpr15
                                        ; implicit-def: $sgpr16
	s_wait_kmcnt 0x0
	v_cmp_gt_i32_e64 s2, s12, v0
	v_cmpx_le_i32_e64 s12, v0
	s_xor_b32 s3, exec_lo, s3
	s_cbranch_execz .LBB0_2
; %bb.1:
	s_load_b32 s4, s[0:1], 0x44
	s_bfe_u32 s5, ttmp6, 0x4000c
	s_and_b32 s6, ttmp6, 15
	s_add_co_i32 s5, s5, 1
	s_delay_alu instid0(SALU_CYCLE_1) | instskip(NEXT) | instid1(SALU_CYCLE_1)
	s_mul_i32 s5, ttmp9, s5
	s_add_co_i32 s6, s6, s5
	s_cmp_eq_u32 s14, 0
	s_cselect_b32 s15, ttmp9, s6
	s_wait_kmcnt 0x0
	s_and_b32 s16, s4, 0xffff
.LBB0_2:
	s_or_saveexec_b32 s3, s3
	s_clause 0x2
	s_load_b128 s[4:7], s[0:1], 0x18
	s_load_b64 s[10:11], s[0:1], 0x0
	s_load_b32 s13, s[0:1], 0x10
	v_dual_mov_b32 v4, 0 :: v_dual_mov_b32 v2, s15
	v_mov_b32_e32 v1, s16
	s_xor_b32 exec_lo, exec_lo, s3
	s_cbranch_execz .LBB0_6
; %bb.3:
	s_load_b32 s15, s[0:1], 0x44
	s_bfe_u32 s16, ttmp6, 0x4000c
	s_and_b32 s17, ttmp6, 15
	s_add_co_i32 s16, s16, 1
	v_dual_mov_b32 v4, 0 :: v_dual_mov_b32 v1, v0
	s_mul_i32 s16, ttmp9, s16
	s_delay_alu instid0(SALU_CYCLE_1)
	s_add_co_i32 s17, s17, s16
	s_cmp_eq_u32 s14, 0
	s_mov_b32 s16, 0
	s_cselect_b32 s14, ttmp9, s17
	s_wait_kmcnt 0x0
	s_mul_i32 s17, s13, s14
	s_and_b32 s15, s15, 0xffff
.LBB0_4:                                ; =>This Inner Loop Header: Depth=1
	s_delay_alu instid0(SALU_CYCLE_1)
	v_dual_add_nc_u32 v2, s17, v1 :: v_dual_add_nc_u32 v1, s15, v1
	global_load_b32 v2, v2, s[8:9] scale_offset
	v_cmp_le_i32_e32 vcc_lo, s12, v1
	s_or_b32 s16, vcc_lo, s16
	s_wait_loadcnt 0x0
	v_fmac_f32_e32 v4, v2, v2
	s_and_not1_b32 exec_lo, exec_lo, s16
	s_cbranch_execnz .LBB0_4
; %bb.5:
	s_or_b32 exec_lo, exec_lo, s16
	v_dual_mov_b32 v2, s14 :: v_dual_mov_b32 v1, s15
.LBB0_6:
	s_or_b32 exec_lo, exec_lo, s3
	v_mbcnt_lo_u32_b32 v3, -1, 0
	v_and_b32_e32 v6, 0x3c0, v0
	s_mov_b32 s3, exec_lo
	s_delay_alu instid0(VALU_DEP_2) | instskip(NEXT) | instid1(VALU_DEP_2)
	v_cmp_ne_u32_e32 vcc_lo, 63, v3
	v_sub_nc_u32_e64 v6, v1, v6 clamp
	v_add_nc_u32_e32 v8, 1, v3
	v_add_co_ci_u32_e64 v5, null, 0, v3, vcc_lo
	v_cmp_gt_u32_e32 vcc_lo, 62, v3
	s_delay_alu instid0(VALU_DEP_2)
	v_lshlrev_b32_e32 v5, 2, v5
	v_cndmask_b32_e64 v7, 0, 2, vcc_lo
	v_cmp_lt_u32_e32 vcc_lo, v8, v6
	v_add_nc_u32_e32 v8, 2, v3
	ds_bpermute_b32 v5, v5, v4
	v_add_lshl_u32 v7, v7, v3, 2
	s_wait_dscnt 0x0
	v_add_f32_e32 v5, v4, v5
	s_delay_alu instid0(VALU_DEP_1)
	v_cndmask_b32_e32 v4, v4, v5, vcc_lo
	v_cmp_gt_u32_e32 vcc_lo, 60, v3
	ds_bpermute_b32 v5, v7, v4
	v_cndmask_b32_e64 v7, 0, 4, vcc_lo
	v_cmp_lt_u32_e32 vcc_lo, v8, v6
	v_add_nc_u32_e32 v8, 4, v3
	s_delay_alu instid0(VALU_DEP_3) | instskip(SKIP_2) | instid1(VALU_DEP_1)
	v_add_lshl_u32 v7, v7, v3, 2
	s_wait_dscnt 0x0
	v_add_f32_e32 v5, v4, v5
	v_cndmask_b32_e32 v4, v4, v5, vcc_lo
	v_cmp_gt_u32_e32 vcc_lo, 56, v3
	ds_bpermute_b32 v5, v7, v4
	v_cndmask_b32_e64 v7, 0, 8, vcc_lo
	v_cmp_lt_u32_e32 vcc_lo, v8, v6
	v_add_nc_u32_e32 v8, 8, v3
	s_delay_alu instid0(VALU_DEP_3) | instskip(SKIP_2) | instid1(VALU_DEP_1)
	v_add_lshl_u32 v7, v7, v3, 2
	s_wait_dscnt 0x0
	v_add_f32_e32 v5, v4, v5
	v_cndmask_b32_e32 v4, v4, v5, vcc_lo
	v_cmp_gt_u32_e32 vcc_lo, 48, v3
	ds_bpermute_b32 v5, v7, v4
	v_cndmask_b32_e64 v7, 0, 16, vcc_lo
	v_cmp_lt_u32_e32 vcc_lo, v8, v6
	s_delay_alu instid0(VALU_DEP_2) | instskip(SKIP_2) | instid1(VALU_DEP_1)
	v_add_lshl_u32 v7, v7, v3, 2
	s_wait_dscnt 0x0
	v_add_f32_e32 v5, v4, v5
	v_cndmask_b32_e32 v5, v4, v5, vcc_lo
	ds_bpermute_b32 v4, v7, v5
	v_add_nc_u32_e32 v7, 16, v3
	s_delay_alu instid0(VALU_DEP_1) | instskip(SKIP_2) | instid1(VALU_DEP_1)
	v_cmp_lt_u32_e32 vcc_lo, v7, v6
	s_wait_dscnt 0x0
	v_dual_add_f32 v8, v5, v4 :: v_dual_lshlrev_b32 v4, 2, v3
	v_dual_cndmask_b32 v5, v5, v8, vcc_lo :: v_dual_bitop2_b32 v8, 32, v3 bitop3:0x54
	ds_bpermute_b32 v7, v4, v5 offset:128
	v_cmp_lt_u32_e32 vcc_lo, v8, v6
	s_wait_dscnt 0x0
	v_add_f32_e32 v7, v5, v7
	s_delay_alu instid0(VALU_DEP_1)
	v_cndmask_b32_e32 v5, v5, v7, vcc_lo
	v_cmpx_eq_u32_e32 0, v3
; %bb.7:
	v_lshrrev_b32_e32 v6, 4, v0
	s_delay_alu instid0(VALU_DEP_1)
	v_and_b32_e32 v6, 60, v6
	ds_store_b32 v6, v5
; %bb.8:
	s_or_b32 exec_lo, exec_lo, s3
	s_delay_alu instid0(SALU_CYCLE_1)
	s_mov_b32 s14, exec_lo
	s_wait_dscnt 0x0
	s_barrier_signal -1
	s_barrier_wait -1
	v_cmpx_gt_u32_e32 16, v0
	s_cbranch_execz .LBB0_10
; %bb.9:
	ds_load_b32 v5, v4
	v_dual_add_nc_u32 v8, 63, v1 :: v_dual_bitop2_b32 v6, 15, v3 bitop3:0x40
	v_or_b32_e32 v4, 32, v4
	s_delay_alu instid0(VALU_DEP_2) | instskip(NEXT) | instid1(VALU_DEP_3)
	v_cmp_ne_u32_e32 vcc_lo, 15, v6
	v_dual_lshrrev_b32 v8, 6, v8 :: v_dual_add_nc_u32 v11, 2, v6
	v_cmp_gt_u32_e64 s3, 12, v6
	v_add_co_ci_u32_e64 v7, null, 0, v3, vcc_lo
	v_cmp_gt_u32_e32 vcc_lo, 14, v6
	s_delay_alu instid0(VALU_DEP_2)
	v_lshlrev_b32_e32 v7, 2, v7
	v_cndmask_b32_e64 v9, 0, 2, vcc_lo
	s_wait_dscnt 0x0
	ds_bpermute_b32 v7, v7, v5
	v_add_nc_u32_e32 v10, 1, v6
	v_add_lshl_u32 v9, v9, v3, 2
	s_wait_dscnt 0x0
	v_add_f32_e32 v7, v5, v7
	s_delay_alu instid0(VALU_DEP_3) | instskip(SKIP_2) | instid1(VALU_DEP_4)
	v_cmp_lt_u32_e32 vcc_lo, v10, v8
	v_cndmask_b32_e64 v10, 0, 4, s3
	v_cmp_lt_u32_e64 s3, v11, v8
	v_cndmask_b32_e32 v7, v5, v7, vcc_lo
	s_delay_alu instid0(VALU_DEP_3) | instskip(SKIP_3) | instid1(VALU_DEP_1)
	v_add_lshl_u32 v3, v10, v3, 2
	ds_bpermute_b32 v9, v9, v7
	s_wait_dscnt 0x0
	v_add_f32_e32 v9, v7, v9
	v_dual_cndmask_b32 v7, v7, v9, s3 :: v_dual_add_nc_u32 v9, 4, v6
	ds_bpermute_b32 v3, v3, v7
	v_cmp_lt_u32_e64 s3, v9, v8
	s_wait_dscnt 0x0
	v_add_f32_e32 v3, v7, v3
	s_delay_alu instid0(VALU_DEP_1) | instskip(SKIP_3) | instid1(VALU_DEP_1)
	v_cndmask_b32_e64 v3, v7, v3, s3
	ds_bpermute_b32 v4, v4, v3
	s_wait_dscnt 0x0
	v_dual_add_nc_u32 v6, 8, v6 :: v_dual_add_f32 v4, v3, v4
	v_cmp_lt_u32_e64 s3, v6, v8
	s_delay_alu instid0(VALU_DEP_1) | instskip(NEXT) | instid1(VALU_DEP_1)
	v_cndmask_b32_e64 v3, v3, v4, s3
	v_cndmask_b32_e32 v5, v5, v3, vcc_lo
.LBB0_10:
	s_or_b32 exec_lo, exec_lo, s14
	s_delay_alu instid0(SALU_CYCLE_1)
	s_mov_b32 s3, exec_lo
	v_cmpx_eq_u32_e32 0, v0
	s_cbranch_execz .LBB0_12
; %bb.11:
	s_cvt_f32_i32 s14, s12
	s_wait_xcnt 0x0
	s_load_b32 s0, s[0:1], 0x28
	s_delay_alu instid0(SALU_CYCLE_1) | instskip(SKIP_1) | instid1(VALU_DEP_2)
	v_div_scale_f32 v3, null, s14, s14, v5
	v_div_scale_f32 v7, vcc_lo, v5, s14, v5
	v_rcp_f32_e32 v4, v3
	v_nop
	s_delay_alu instid0(TRANS32_DEP_1) | instskip(NEXT) | instid1(VALU_DEP_1)
	v_fma_f32 v6, -v3, v4, 1.0
	v_fmac_f32_e32 v4, v6, v4
	s_delay_alu instid0(VALU_DEP_1) | instskip(NEXT) | instid1(VALU_DEP_1)
	v_mul_f32_e32 v6, v7, v4
	v_fma_f32 v8, -v3, v6, v7
	s_delay_alu instid0(VALU_DEP_1) | instskip(NEXT) | instid1(VALU_DEP_1)
	v_fmac_f32_e32 v6, v8, v4
	v_fma_f32 v3, -v3, v6, v7
	s_delay_alu instid0(VALU_DEP_1) | instskip(NEXT) | instid1(VALU_DEP_1)
	v_div_fmas_f32 v3, v3, v4, v6
	v_div_fixup_f32 v3, v3, s14, v5
	s_wait_kmcnt 0x0
	s_delay_alu instid0(VALU_DEP_1) | instskip(NEXT) | instid1(VALU_DEP_1)
	v_add_f32_e32 v3, s0, v3
	v_mul_f32_e32 v4, 0x4b800000, v3
	v_cmp_gt_f32_e32 vcc_lo, 0x800000, v3
	s_delay_alu instid0(VALU_DEP_2) | instskip(NEXT) | instid1(VALU_DEP_1)
	v_cndmask_b32_e32 v3, v3, v4, vcc_lo
	v_rsq_f32_e32 v3, v3
	v_nop
	s_delay_alu instid0(TRANS32_DEP_1) | instskip(NEXT) | instid1(VALU_DEP_1)
	v_mul_f32_e32 v4, 0x45800000, v3
	v_dual_cndmask_b32 v3, v3, v4 :: v_dual_mov_b32 v4, 0
	ds_store_b32 v4, v3 offset:64
.LBB0_12:
	s_or_b32 exec_lo, exec_lo, s3
	s_wait_dscnt 0x0
	s_barrier_signal -1
	s_barrier_wait -1
	s_wait_xcnt 0x0
	s_and_saveexec_b32 s0, s2
	s_cbranch_execz .LBB0_33
; %bb.13:
	s_wait_kmcnt 0x0
	s_load_b32 s0, s[6:7], 0x0
	v_mul_lo_u32 v7, s13, v2
	v_mul_lo_u32 v8, s12, v2
	s_mov_b32 s2, 0
	s_mov_b32 s3, 0x43e00000
	s_wait_kmcnt 0x0
	v_div_scale_f32 v3, null, s0, s0, 1.0
	v_div_scale_f32 v9, vcc_lo, 1.0, s0, 1.0
	s_delay_alu instid0(VALU_DEP_2)
	v_rcp_f32_e32 v4, v3
	v_xor_b32_e32 v5, 0x80000000, v3
	s_delay_alu instid0(TRANS32_DEP_1) | instid1(VALU_DEP_1)
	v_fma_f32 v3, v5, v4, 1.0
	s_delay_alu instid0(VALU_DEP_1) | instskip(NEXT) | instid1(VALU_DEP_1)
	v_dual_fmac_f32 v4, v3, v4 :: v_dual_mov_b32 v3, 0
	v_mul_f32_e32 v10, v9, v4
	s_delay_alu instid0(VALU_DEP_1) | instskip(NEXT) | instid1(VALU_DEP_1)
	v_fma_f32 v6, v5, v10, v9
	v_fmac_f32_e32 v10, v6, v4
	ds_load_b32 v6, v3 offset:64
	v_fmac_f32_e32 v9, v5, v10
	s_delay_alu instid0(VALU_DEP_1) | instskip(NEXT) | instid1(VALU_DEP_1)
	v_div_fmas_f32 v2, v9, v4, v10
	v_div_fixup_f32 v9, v2, s0, 1.0
	s_branch .LBB0_15
.LBB0_14:                               ;   in Loop: Header=BB0_15 Depth=1
	s_or_b32 exec_lo, exec_lo, s0
	v_add_nc_u32_e32 v4, v8, v0
	v_add_nc_u32_e32 v0, v0, v1
	global_store_b8 v4, v2, s[10:11]
	v_cmp_le_i32_e32 vcc_lo, s12, v0
	s_or_b32 s2, vcc_lo, s2
	s_wait_xcnt 0x0
	s_and_not1_b32 exec_lo, exec_lo, s2
	s_cbranch_execz .LBB0_33
.LBB0_15:                               ; =>This Inner Loop Header: Depth=1
	v_add_nc_u32_e32 v2, v7, v0
	global_load_b32 v4, v2, s[8:9] scale_offset
	global_load_b32 v5, v0, s[4:5] scale_offset
	s_wait_loadcnt_dscnt 0x100
	s_wait_xcnt 0x1
	v_mul_f32_e32 v2, v4, v6
	s_wait_loadcnt 0x0
	s_delay_alu instid0(VALU_DEP_1) | instskip(NEXT) | instid1(VALU_DEP_1)
	v_mul_f32_e32 v2, v2, v5
	v_mul_f32_e32 v2, v9, v2
	s_delay_alu instid0(VALU_DEP_1) | instskip(NEXT) | instid1(VALU_DEP_1)
	v_minmax_num_f32 v4, v2, s3, 0xc3e00000
	v_and_b32_e32 v2, 0x7f800000, v4
	v_lshrrev_b32_e32 v5, 24, v4
	s_delay_alu instid0(VALU_DEP_2) | instskip(SKIP_2) | instid1(SALU_CYCLE_1)
	v_cmp_ne_u64_e32 vcc_lo, 0x7f800000, v[2:3]
                                        ; implicit-def: $vgpr2
	s_wait_xcnt 0x0
	s_and_saveexec_b32 s0, vcc_lo
	s_xor_b32 s6, exec_lo, s0
	s_cbranch_execz .LBB0_31
; %bb.16:                               ;   in Loop: Header=BB0_15 Depth=1
	v_and_b32_e32 v2, 0x7fffffff, v4
	v_and_b32_e32 v10, 0x80, v5
	s_delay_alu instid0(VALU_DEP_2) | instskip(SKIP_1) | instid1(SALU_CYCLE_1)
	v_cmp_gt_u64_e32 vcc_lo, 0x43e00001, v[2:3]
                                        ; implicit-def: $vgpr2
	s_and_saveexec_b32 s0, vcc_lo
	s_xor_b32 s7, exec_lo, s0
	s_cbranch_execz .LBB0_28
; %bb.17:                               ;   in Loop: Header=BB0_15 Depth=1
	v_mov_b32_e32 v2, 0
	s_mov_b32 s13, exec_lo
	v_cmpx_ne_u32_e32 0, v4
	s_cbranch_execz .LBB0_27
; %bb.18:                               ;   in Loop: Header=BB0_15 Depth=1
	v_bfe_u32 v11, v4, 23, 8
	v_and_b32_e32 v4, 0x7fffff, v4
	s_delay_alu instid0(VALU_DEP_2) | instskip(SKIP_2) | instid1(VALU_DEP_3)
	v_sub_nc_u32_e64 v2, 0x79, v11 clamp
	v_cmp_eq_u32_e32 vcc_lo, 0, v11
	v_add_nc_u32_e32 v11, 0xffffff88, v11
	v_cndmask_b32_e64 v16, v2, 0x78, vcc_lo
	v_or_b32_e32 v2, 0x800000, v4
	s_delay_alu instid0(VALU_DEP_2) | instskip(NEXT) | instid1(VALU_DEP_2)
	v_dual_add_nc_u32 v5, 20, v16 :: v_dual_add_nc_u32 v12, 19, v16
	v_cndmask_b32_e32 v2, v2, v4, vcc_lo
	s_delay_alu instid0(VALU_DEP_2) | instskip(NEXT) | instid1(VALU_DEP_3)
	v_lshlrev_b64_e64 v[4:5], v5, -1
	v_lshlrev_b64_e64 v[12:13], v12, 1
	s_delay_alu instid0(VALU_DEP_3) | instskip(NEXT) | instid1(VALU_DEP_3)
	v_lshrrev_b64 v[14:15], v16, v[2:3]
	v_bfi_b32 v5, v5, 0, 0
	s_delay_alu instid0(VALU_DEP_4) | instskip(NEXT) | instid1(VALU_DEP_3)
	v_bfi_b32 v4, v4, 0, v2
	v_and_b32_e32 v2, 0x100000, v14
	s_delay_alu instid0(VALU_DEP_2) | instskip(NEXT) | instid1(VALU_DEP_2)
	v_cmp_eq_u64_e64 s0, v[4:5], v[12:13]
	v_cmp_eq_u64_e64 s1, 0, v[2:3]
	v_cndmask_b32_e64 v2, v11, 0xffffff89, vcc_lo
	v_lshrrev_b32_e32 v4, 23, v14
                                        ; implicit-def: $vgpr11
	s_delay_alu instid0(VALU_DEP_1) | instskip(SKIP_3) | instid1(VALU_DEP_2)
	v_add3_u32 v12, v2, v16, v4
	s_and_b32 vcc_lo, s1, s0
	s_mov_b32 s0, exec_lo
	v_subrev_co_ci_u32_e64 v5, null, 0, v14, vcc_lo
	v_add_nc_u32_e32 v13, -1, v12
	s_delay_alu instid0(VALU_DEP_2) | instskip(NEXT) | instid1(VALU_DEP_1)
	v_and_b32_e32 v2, 0xfffff, v5
                                        ; implicit-def: $vgpr4_vgpr5
	v_add_nc_u32_e32 v2, v2, v14
	s_delay_alu instid0(VALU_DEP_3)
	v_cmpx_ne_u32_e32 0, v13
	s_xor_b32 s0, exec_lo, s0
	s_cbranch_execz .LBB0_20
; %bb.19:                               ;   in Loop: Header=BB0_15 Depth=1
	s_delay_alu instid0(VALU_DEP_2) | instskip(SKIP_2) | instid1(VALU_DEP_2)
	v_and_b32_e32 v14, 0x1000000, v2
	v_mov_b32_e32 v15, v3
	v_bfe_u32 v4, v2, 24, 1
	v_cmp_eq_u64_e32 vcc_lo, 0, v[14:15]
	s_delay_alu instid0(VALU_DEP_2)
	v_lshrrev_b64 v[4:5], v4, v[2:3]
	v_cndmask_b32_e32 v11, v12, v13, vcc_lo
.LBB0_20:                               ;   in Loop: Header=BB0_15 Depth=1
	s_and_not1_saveexec_b32 s0, s0
; %bb.21:                               ;   in Loop: Header=BB0_15 Depth=1
	v_mov_b64_e32 v[4:5], v[2:3]
	v_bfe_u32 v11, v2, 23, 1
; %bb.22:                               ;   in Loop: Header=BB0_15 Depth=1
	s_or_b32 exec_lo, exec_lo, s0
	s_delay_alu instid0(VALU_DEP_2) | instskip(NEXT) | instid1(VALU_DEP_2)
	v_lshrrev_b64 v[4:5], 20, v[4:5]
	v_cmp_gt_i32_e32 vcc_lo, 16, v11
	v_cmp_ne_u32_e64 s0, 0, v11
                                        ; implicit-def: $vgpr2
	s_delay_alu instid0(VALU_DEP_3) | instskip(NEXT) | instid1(VALU_DEP_1)
	v_dual_cndmask_b32 v5, 0, v5 :: v_dual_cndmask_b32 v4, 7, v4
	v_cmp_ne_u64_e32 vcc_lo, 0, v[4:5]
	s_or_b32 s0, s0, vcc_lo
	s_delay_alu instid0(SALU_CYCLE_1) | instskip(NEXT) | instid1(SALU_CYCLE_1)
	s_and_saveexec_b32 s1, s0
	s_xor_b32 s0, exec_lo, s1
; %bb.23:                               ;   in Loop: Header=BB0_15 Depth=1
	v_min_i32_e32 v2, 15, v11
	s_delay_alu instid0(VALU_DEP_1) | instskip(NEXT) | instid1(VALU_DEP_1)
	v_lshl_or_b32 v2, v2, 3, v10
                                        ; implicit-def: $vgpr10
	v_and_or_b32 v2, v4, 7, v2
; %bb.24:                               ;   in Loop: Header=BB0_15 Depth=1
	s_and_not1_saveexec_b32 s0, s0
; %bb.25:                               ;   in Loop: Header=BB0_15 Depth=1
	v_mov_b32_e32 v2, v10
; %bb.26:                               ;   in Loop: Header=BB0_15 Depth=1
	s_or_b32 exec_lo, exec_lo, s0
.LBB0_27:                               ;   in Loop: Header=BB0_15 Depth=1
	s_delay_alu instid0(SALU_CYCLE_1)
	s_or_b32 exec_lo, exec_lo, s13
                                        ; implicit-def: $vgpr10
.LBB0_28:                               ;   in Loop: Header=BB0_15 Depth=1
	s_and_not1_saveexec_b32 s0, s7
; %bb.29:                               ;   in Loop: Header=BB0_15 Depth=1
	v_or_b32_e32 v2, 0x7e, v10
; %bb.30:                               ;   in Loop: Header=BB0_15 Depth=1
	s_or_b32 exec_lo, exec_lo, s0
                                        ; implicit-def: $vgpr5
.LBB0_31:                               ;   in Loop: Header=BB0_15 Depth=1
	s_and_not1_saveexec_b32 s0, s6
	s_cbranch_execz .LBB0_14
; %bb.32:                               ;   in Loop: Header=BB0_15 Depth=1
	v_or_b32_e32 v2, 0x7f, v5
	s_branch .LBB0_14
.LBB0_33:
	s_endpgm
	.section	.rodata,"a",@progbits
	.p2align	6, 0x0
	.amdhsa_kernel _ZN4vllm32rms_norm_static_fp8_quant_kernelIfN3c1013Float8_e4m3fnEEEvPT0_PKT_iS7_PKffii
		.amdhsa_group_segment_fixed_size 68
		.amdhsa_private_segment_fixed_size 0
		.amdhsa_kernarg_size 312
		.amdhsa_user_sgpr_count 2
		.amdhsa_user_sgpr_dispatch_ptr 0
		.amdhsa_user_sgpr_queue_ptr 0
		.amdhsa_user_sgpr_kernarg_segment_ptr 1
		.amdhsa_user_sgpr_dispatch_id 0
		.amdhsa_user_sgpr_kernarg_preload_length 0
		.amdhsa_user_sgpr_kernarg_preload_offset 0
		.amdhsa_user_sgpr_private_segment_size 0
		.amdhsa_wavefront_size32 1
		.amdhsa_uses_dynamic_stack 0
		.amdhsa_enable_private_segment 0
		.amdhsa_system_sgpr_workgroup_id_x 1
		.amdhsa_system_sgpr_workgroup_id_y 0
		.amdhsa_system_sgpr_workgroup_id_z 0
		.amdhsa_system_sgpr_workgroup_info 0
		.amdhsa_system_vgpr_workitem_id 0
		.amdhsa_next_free_vgpr 17
		.amdhsa_next_free_sgpr 18
		.amdhsa_named_barrier_count 0
		.amdhsa_reserve_vcc 1
		.amdhsa_float_round_mode_32 0
		.amdhsa_float_round_mode_16_64 0
		.amdhsa_float_denorm_mode_32 3
		.amdhsa_float_denorm_mode_16_64 3
		.amdhsa_fp16_overflow 0
		.amdhsa_memory_ordered 1
		.amdhsa_forward_progress 1
		.amdhsa_inst_pref_size 16
		.amdhsa_round_robin_scheduling 0
		.amdhsa_exception_fp_ieee_invalid_op 0
		.amdhsa_exception_fp_denorm_src 0
		.amdhsa_exception_fp_ieee_div_zero 0
		.amdhsa_exception_fp_ieee_overflow 0
		.amdhsa_exception_fp_ieee_underflow 0
		.amdhsa_exception_fp_ieee_inexact 0
		.amdhsa_exception_int_div_zero 0
	.end_amdhsa_kernel
	.section	.text._ZN4vllm32rms_norm_static_fp8_quant_kernelIfN3c1013Float8_e4m3fnEEEvPT0_PKT_iS7_PKffii,"axG",@progbits,_ZN4vllm32rms_norm_static_fp8_quant_kernelIfN3c1013Float8_e4m3fnEEEvPT0_PKT_iS7_PKffii,comdat
.Lfunc_end0:
	.size	_ZN4vllm32rms_norm_static_fp8_quant_kernelIfN3c1013Float8_e4m3fnEEEvPT0_PKT_iS7_PKffii, .Lfunc_end0-_ZN4vllm32rms_norm_static_fp8_quant_kernelIfN3c1013Float8_e4m3fnEEEvPT0_PKT_iS7_PKffii
                                        ; -- End function
	.set _ZN4vllm32rms_norm_static_fp8_quant_kernelIfN3c1013Float8_e4m3fnEEEvPT0_PKT_iS7_PKffii.num_vgpr, 17
	.set _ZN4vllm32rms_norm_static_fp8_quant_kernelIfN3c1013Float8_e4m3fnEEEvPT0_PKT_iS7_PKffii.num_agpr, 0
	.set _ZN4vllm32rms_norm_static_fp8_quant_kernelIfN3c1013Float8_e4m3fnEEEvPT0_PKT_iS7_PKffii.numbered_sgpr, 18
	.set _ZN4vllm32rms_norm_static_fp8_quant_kernelIfN3c1013Float8_e4m3fnEEEvPT0_PKT_iS7_PKffii.num_named_barrier, 0
	.set _ZN4vllm32rms_norm_static_fp8_quant_kernelIfN3c1013Float8_e4m3fnEEEvPT0_PKT_iS7_PKffii.private_seg_size, 0
	.set _ZN4vllm32rms_norm_static_fp8_quant_kernelIfN3c1013Float8_e4m3fnEEEvPT0_PKT_iS7_PKffii.uses_vcc, 1
	.set _ZN4vllm32rms_norm_static_fp8_quant_kernelIfN3c1013Float8_e4m3fnEEEvPT0_PKT_iS7_PKffii.uses_flat_scratch, 0
	.set _ZN4vllm32rms_norm_static_fp8_quant_kernelIfN3c1013Float8_e4m3fnEEEvPT0_PKT_iS7_PKffii.has_dyn_sized_stack, 0
	.set _ZN4vllm32rms_norm_static_fp8_quant_kernelIfN3c1013Float8_e4m3fnEEEvPT0_PKT_iS7_PKffii.has_recursion, 0
	.set _ZN4vllm32rms_norm_static_fp8_quant_kernelIfN3c1013Float8_e4m3fnEEEvPT0_PKT_iS7_PKffii.has_indirect_call, 0
	.section	.AMDGPU.csdata,"",@progbits
; Kernel info:
; codeLenInByte = 2012
; TotalNumSgprs: 20
; NumVgprs: 17
; ScratchSize: 0
; MemoryBound: 0
; FloatMode: 240
; IeeeMode: 1
; LDSByteSize: 68 bytes/workgroup (compile time only)
; SGPRBlocks: 0
; VGPRBlocks: 1
; NumSGPRsForWavesPerEU: 20
; NumVGPRsForWavesPerEU: 17
; NamedBarCnt: 0
; Occupancy: 16
; WaveLimiterHint : 0
; COMPUTE_PGM_RSRC2:SCRATCH_EN: 0
; COMPUTE_PGM_RSRC2:USER_SGPR: 2
; COMPUTE_PGM_RSRC2:TRAP_HANDLER: 0
; COMPUTE_PGM_RSRC2:TGID_X_EN: 1
; COMPUTE_PGM_RSRC2:TGID_Y_EN: 0
; COMPUTE_PGM_RSRC2:TGID_Z_EN: 0
; COMPUTE_PGM_RSRC2:TIDIG_COMP_CNT: 0
	.section	.text._ZN4vllm32rms_norm_static_fp8_quant_kernelIfN3c1015Float8_e4m3fnuzEEEvPT0_PKT_iS7_PKffii,"axG",@progbits,_ZN4vllm32rms_norm_static_fp8_quant_kernelIfN3c1015Float8_e4m3fnuzEEEvPT0_PKT_iS7_PKffii,comdat
	.protected	_ZN4vllm32rms_norm_static_fp8_quant_kernelIfN3c1015Float8_e4m3fnuzEEEvPT0_PKT_iS7_PKffii ; -- Begin function _ZN4vllm32rms_norm_static_fp8_quant_kernelIfN3c1015Float8_e4m3fnuzEEEvPT0_PKT_iS7_PKffii
	.globl	_ZN4vllm32rms_norm_static_fp8_quant_kernelIfN3c1015Float8_e4m3fnuzEEEvPT0_PKT_iS7_PKffii
	.p2align	8
	.type	_ZN4vllm32rms_norm_static_fp8_quant_kernelIfN3c1015Float8_e4m3fnuzEEEvPT0_PKT_iS7_PKffii,@function
_ZN4vllm32rms_norm_static_fp8_quant_kernelIfN3c1015Float8_e4m3fnuzEEEvPT0_PKT_iS7_PKffii: ; @_ZN4vllm32rms_norm_static_fp8_quant_kernelIfN3c1015Float8_e4m3fnuzEEEvPT0_PKT_iS7_PKffii
; %bb.0:
	s_clause 0x1
	s_load_b32 s12, s[0:1], 0x30
	s_load_b64 s[8:9], s[0:1], 0x8
	s_getreg_b32 s14, hwreg(HW_REG_IB_STS2, 6, 4)
	s_mov_b32 s3, exec_lo
                                        ; implicit-def: $sgpr15
                                        ; implicit-def: $sgpr16
	s_wait_kmcnt 0x0
	v_cmp_gt_i32_e64 s2, s12, v0
	v_cmpx_le_i32_e64 s12, v0
	s_xor_b32 s3, exec_lo, s3
	s_cbranch_execz .LBB1_2
; %bb.1:
	s_load_b32 s4, s[0:1], 0x44
	s_bfe_u32 s5, ttmp6, 0x4000c
	s_and_b32 s6, ttmp6, 15
	s_add_co_i32 s5, s5, 1
	s_delay_alu instid0(SALU_CYCLE_1) | instskip(NEXT) | instid1(SALU_CYCLE_1)
	s_mul_i32 s5, ttmp9, s5
	s_add_co_i32 s6, s6, s5
	s_cmp_eq_u32 s14, 0
	s_cselect_b32 s15, ttmp9, s6
	s_wait_kmcnt 0x0
	s_and_b32 s16, s4, 0xffff
.LBB1_2:
	s_or_saveexec_b32 s3, s3
	s_clause 0x2
	s_load_b128 s[4:7], s[0:1], 0x18
	s_load_b64 s[10:11], s[0:1], 0x0
	s_load_b32 s13, s[0:1], 0x10
	v_dual_mov_b32 v4, 0 :: v_dual_mov_b32 v2, s15
	v_mov_b32_e32 v1, s16
	s_xor_b32 exec_lo, exec_lo, s3
	s_cbranch_execz .LBB1_6
; %bb.3:
	s_load_b32 s15, s[0:1], 0x44
	s_bfe_u32 s16, ttmp6, 0x4000c
	s_and_b32 s17, ttmp6, 15
	s_add_co_i32 s16, s16, 1
	v_dual_mov_b32 v4, 0 :: v_dual_mov_b32 v1, v0
	s_mul_i32 s16, ttmp9, s16
	s_delay_alu instid0(SALU_CYCLE_1)
	s_add_co_i32 s17, s17, s16
	s_cmp_eq_u32 s14, 0
	s_mov_b32 s16, 0
	s_cselect_b32 s14, ttmp9, s17
	s_wait_kmcnt 0x0
	s_mul_i32 s17, s13, s14
	s_and_b32 s15, s15, 0xffff
.LBB1_4:                                ; =>This Inner Loop Header: Depth=1
	s_delay_alu instid0(SALU_CYCLE_1)
	v_dual_add_nc_u32 v2, s17, v1 :: v_dual_add_nc_u32 v1, s15, v1
	global_load_b32 v2, v2, s[8:9] scale_offset
	v_cmp_le_i32_e32 vcc_lo, s12, v1
	s_or_b32 s16, vcc_lo, s16
	s_wait_loadcnt 0x0
	v_fmac_f32_e32 v4, v2, v2
	s_and_not1_b32 exec_lo, exec_lo, s16
	s_cbranch_execnz .LBB1_4
; %bb.5:
	s_or_b32 exec_lo, exec_lo, s16
	v_dual_mov_b32 v2, s14 :: v_dual_mov_b32 v1, s15
.LBB1_6:
	s_or_b32 exec_lo, exec_lo, s3
	v_mbcnt_lo_u32_b32 v3, -1, 0
	v_and_b32_e32 v6, 0x3c0, v0
	s_mov_b32 s3, exec_lo
	s_delay_alu instid0(VALU_DEP_2) | instskip(NEXT) | instid1(VALU_DEP_2)
	v_cmp_ne_u32_e32 vcc_lo, 63, v3
	v_sub_nc_u32_e64 v6, v1, v6 clamp
	v_add_nc_u32_e32 v8, 1, v3
	v_add_co_ci_u32_e64 v5, null, 0, v3, vcc_lo
	v_cmp_gt_u32_e32 vcc_lo, 62, v3
	s_delay_alu instid0(VALU_DEP_2)
	v_lshlrev_b32_e32 v5, 2, v5
	v_cndmask_b32_e64 v7, 0, 2, vcc_lo
	v_cmp_lt_u32_e32 vcc_lo, v8, v6
	v_add_nc_u32_e32 v8, 2, v3
	ds_bpermute_b32 v5, v5, v4
	v_add_lshl_u32 v7, v7, v3, 2
	s_wait_dscnt 0x0
	v_add_f32_e32 v5, v4, v5
	s_delay_alu instid0(VALU_DEP_1)
	v_cndmask_b32_e32 v4, v4, v5, vcc_lo
	v_cmp_gt_u32_e32 vcc_lo, 60, v3
	ds_bpermute_b32 v5, v7, v4
	v_cndmask_b32_e64 v7, 0, 4, vcc_lo
	v_cmp_lt_u32_e32 vcc_lo, v8, v6
	v_add_nc_u32_e32 v8, 4, v3
	s_delay_alu instid0(VALU_DEP_3) | instskip(SKIP_2) | instid1(VALU_DEP_1)
	v_add_lshl_u32 v7, v7, v3, 2
	s_wait_dscnt 0x0
	v_add_f32_e32 v5, v4, v5
	v_cndmask_b32_e32 v4, v4, v5, vcc_lo
	v_cmp_gt_u32_e32 vcc_lo, 56, v3
	ds_bpermute_b32 v5, v7, v4
	v_cndmask_b32_e64 v7, 0, 8, vcc_lo
	v_cmp_lt_u32_e32 vcc_lo, v8, v6
	v_add_nc_u32_e32 v8, 8, v3
	s_delay_alu instid0(VALU_DEP_3) | instskip(SKIP_2) | instid1(VALU_DEP_1)
	v_add_lshl_u32 v7, v7, v3, 2
	s_wait_dscnt 0x0
	v_add_f32_e32 v5, v4, v5
	v_cndmask_b32_e32 v4, v4, v5, vcc_lo
	v_cmp_gt_u32_e32 vcc_lo, 48, v3
	ds_bpermute_b32 v5, v7, v4
	v_cndmask_b32_e64 v7, 0, 16, vcc_lo
	v_cmp_lt_u32_e32 vcc_lo, v8, v6
	s_delay_alu instid0(VALU_DEP_2) | instskip(SKIP_2) | instid1(VALU_DEP_1)
	v_add_lshl_u32 v7, v7, v3, 2
	s_wait_dscnt 0x0
	v_add_f32_e32 v5, v4, v5
	v_cndmask_b32_e32 v5, v4, v5, vcc_lo
	ds_bpermute_b32 v4, v7, v5
	v_add_nc_u32_e32 v7, 16, v3
	s_delay_alu instid0(VALU_DEP_1) | instskip(SKIP_2) | instid1(VALU_DEP_1)
	v_cmp_lt_u32_e32 vcc_lo, v7, v6
	s_wait_dscnt 0x0
	v_dual_add_f32 v8, v5, v4 :: v_dual_lshlrev_b32 v4, 2, v3
	v_dual_cndmask_b32 v5, v5, v8, vcc_lo :: v_dual_bitop2_b32 v8, 32, v3 bitop3:0x54
	ds_bpermute_b32 v7, v4, v5 offset:128
	v_cmp_lt_u32_e32 vcc_lo, v8, v6
	s_wait_dscnt 0x0
	v_add_f32_e32 v7, v5, v7
	s_delay_alu instid0(VALU_DEP_1)
	v_cndmask_b32_e32 v5, v5, v7, vcc_lo
	v_cmpx_eq_u32_e32 0, v3
; %bb.7:
	v_lshrrev_b32_e32 v6, 4, v0
	s_delay_alu instid0(VALU_DEP_1)
	v_and_b32_e32 v6, 60, v6
	ds_store_b32 v6, v5
; %bb.8:
	s_or_b32 exec_lo, exec_lo, s3
	s_delay_alu instid0(SALU_CYCLE_1)
	s_mov_b32 s14, exec_lo
	s_wait_dscnt 0x0
	s_barrier_signal -1
	s_barrier_wait -1
	v_cmpx_gt_u32_e32 16, v0
	s_cbranch_execz .LBB1_10
; %bb.9:
	ds_load_b32 v5, v4
	v_dual_add_nc_u32 v8, 63, v1 :: v_dual_bitop2_b32 v6, 15, v3 bitop3:0x40
	v_or_b32_e32 v4, 32, v4
	s_delay_alu instid0(VALU_DEP_2) | instskip(NEXT) | instid1(VALU_DEP_3)
	v_cmp_ne_u32_e32 vcc_lo, 15, v6
	v_dual_lshrrev_b32 v8, 6, v8 :: v_dual_add_nc_u32 v11, 2, v6
	v_cmp_gt_u32_e64 s3, 12, v6
	v_add_co_ci_u32_e64 v7, null, 0, v3, vcc_lo
	v_cmp_gt_u32_e32 vcc_lo, 14, v6
	s_delay_alu instid0(VALU_DEP_2)
	v_lshlrev_b32_e32 v7, 2, v7
	v_cndmask_b32_e64 v9, 0, 2, vcc_lo
	s_wait_dscnt 0x0
	ds_bpermute_b32 v7, v7, v5
	v_add_nc_u32_e32 v10, 1, v6
	v_add_lshl_u32 v9, v9, v3, 2
	s_wait_dscnt 0x0
	v_add_f32_e32 v7, v5, v7
	s_delay_alu instid0(VALU_DEP_3) | instskip(SKIP_2) | instid1(VALU_DEP_4)
	v_cmp_lt_u32_e32 vcc_lo, v10, v8
	v_cndmask_b32_e64 v10, 0, 4, s3
	v_cmp_lt_u32_e64 s3, v11, v8
	v_cndmask_b32_e32 v7, v5, v7, vcc_lo
	s_delay_alu instid0(VALU_DEP_3) | instskip(SKIP_3) | instid1(VALU_DEP_1)
	v_add_lshl_u32 v3, v10, v3, 2
	ds_bpermute_b32 v9, v9, v7
	s_wait_dscnt 0x0
	v_add_f32_e32 v9, v7, v9
	v_dual_cndmask_b32 v7, v7, v9, s3 :: v_dual_add_nc_u32 v9, 4, v6
	ds_bpermute_b32 v3, v3, v7
	v_cmp_lt_u32_e64 s3, v9, v8
	s_wait_dscnt 0x0
	v_add_f32_e32 v3, v7, v3
	s_delay_alu instid0(VALU_DEP_1) | instskip(SKIP_3) | instid1(VALU_DEP_1)
	v_cndmask_b32_e64 v3, v7, v3, s3
	ds_bpermute_b32 v4, v4, v3
	s_wait_dscnt 0x0
	v_dual_add_nc_u32 v6, 8, v6 :: v_dual_add_f32 v4, v3, v4
	v_cmp_lt_u32_e64 s3, v6, v8
	s_delay_alu instid0(VALU_DEP_1) | instskip(NEXT) | instid1(VALU_DEP_1)
	v_cndmask_b32_e64 v3, v3, v4, s3
	v_cndmask_b32_e32 v5, v5, v3, vcc_lo
.LBB1_10:
	s_or_b32 exec_lo, exec_lo, s14
	s_delay_alu instid0(SALU_CYCLE_1)
	s_mov_b32 s3, exec_lo
	v_cmpx_eq_u32_e32 0, v0
	s_cbranch_execz .LBB1_12
; %bb.11:
	s_cvt_f32_i32 s14, s12
	s_wait_xcnt 0x0
	s_load_b32 s0, s[0:1], 0x28
	s_delay_alu instid0(SALU_CYCLE_1) | instskip(SKIP_1) | instid1(VALU_DEP_2)
	v_div_scale_f32 v3, null, s14, s14, v5
	v_div_scale_f32 v7, vcc_lo, v5, s14, v5
	v_rcp_f32_e32 v4, v3
	v_nop
	s_delay_alu instid0(TRANS32_DEP_1) | instskip(NEXT) | instid1(VALU_DEP_1)
	v_fma_f32 v6, -v3, v4, 1.0
	v_fmac_f32_e32 v4, v6, v4
	s_delay_alu instid0(VALU_DEP_1) | instskip(NEXT) | instid1(VALU_DEP_1)
	v_mul_f32_e32 v6, v7, v4
	v_fma_f32 v8, -v3, v6, v7
	s_delay_alu instid0(VALU_DEP_1) | instskip(NEXT) | instid1(VALU_DEP_1)
	v_fmac_f32_e32 v6, v8, v4
	v_fma_f32 v3, -v3, v6, v7
	s_delay_alu instid0(VALU_DEP_1) | instskip(NEXT) | instid1(VALU_DEP_1)
	v_div_fmas_f32 v3, v3, v4, v6
	v_div_fixup_f32 v3, v3, s14, v5
	s_wait_kmcnt 0x0
	s_delay_alu instid0(VALU_DEP_1) | instskip(NEXT) | instid1(VALU_DEP_1)
	v_add_f32_e32 v3, s0, v3
	v_mul_f32_e32 v4, 0x4b800000, v3
	v_cmp_gt_f32_e32 vcc_lo, 0x800000, v3
	s_delay_alu instid0(VALU_DEP_2) | instskip(NEXT) | instid1(VALU_DEP_1)
	v_cndmask_b32_e32 v3, v3, v4, vcc_lo
	v_rsq_f32_e32 v3, v3
	v_nop
	s_delay_alu instid0(TRANS32_DEP_1) | instskip(NEXT) | instid1(VALU_DEP_1)
	v_mul_f32_e32 v4, 0x45800000, v3
	v_dual_cndmask_b32 v3, v3, v4 :: v_dual_mov_b32 v4, 0
	ds_store_b32 v4, v3 offset:64
.LBB1_12:
	s_or_b32 exec_lo, exec_lo, s3
	s_wait_dscnt 0x0
	s_barrier_signal -1
	s_barrier_wait -1
	s_wait_xcnt 0x0
	s_and_saveexec_b32 s0, s2
	s_cbranch_execz .LBB1_27
; %bb.13:
	s_wait_kmcnt 0x0
	s_load_b32 s0, s[6:7], 0x0
	v_mul_lo_u32 v7, s13, v2
	v_mul_lo_u32 v8, s12, v2
	s_mov_b32 s2, 0
	s_mov_b32 s3, 0x43600000
	s_wait_kmcnt 0x0
	v_div_scale_f32 v3, null, s0, s0, 1.0
	v_div_scale_f32 v9, vcc_lo, 1.0, s0, 1.0
	s_delay_alu instid0(VALU_DEP_2)
	v_rcp_f32_e32 v4, v3
	v_xor_b32_e32 v5, 0x80000000, v3
	s_delay_alu instid0(TRANS32_DEP_1) | instid1(VALU_DEP_1)
	v_fma_f32 v3, v5, v4, 1.0
	s_delay_alu instid0(VALU_DEP_1) | instskip(NEXT) | instid1(VALU_DEP_1)
	v_dual_fmac_f32 v4, v3, v4 :: v_dual_mov_b32 v3, 0
	v_mul_f32_e32 v10, v9, v4
	s_delay_alu instid0(VALU_DEP_1) | instskip(NEXT) | instid1(VALU_DEP_1)
	v_fma_f32 v6, v5, v10, v9
	v_fmac_f32_e32 v10, v6, v4
	ds_load_b32 v6, v3 offset:64
	v_fmac_f32_e32 v9, v5, v10
	s_delay_alu instid0(VALU_DEP_1) | instskip(NEXT) | instid1(VALU_DEP_1)
	v_div_fmas_f32 v2, v9, v4, v10
	v_div_fixup_f32 v9, v2, s0, 1.0
	s_branch .LBB1_16
.LBB1_14:                               ;   in Loop: Header=BB1_16 Depth=1
	s_or_b32 exec_lo, exec_lo, s0
.LBB1_15:                               ;   in Loop: Header=BB1_16 Depth=1
	s_delay_alu instid0(SALU_CYCLE_1)
	s_or_b32 exec_lo, exec_lo, s6
	v_add_nc_u32_e32 v4, v8, v0
	v_add_nc_u32_e32 v0, v0, v1
	global_store_b8 v4, v2, s[10:11]
	v_cmp_le_i32_e32 vcc_lo, s12, v0
	s_or_b32 s2, vcc_lo, s2
	s_wait_xcnt 0x0
	s_and_not1_b32 exec_lo, exec_lo, s2
	s_cbranch_execz .LBB1_27
.LBB1_16:                               ; =>This Inner Loop Header: Depth=1
	v_add_nc_u32_e32 v2, v7, v0
	global_load_b32 v4, v2, s[8:9] scale_offset
	global_load_b32 v5, v0, s[4:5] scale_offset
	s_wait_loadcnt_dscnt 0x100
	s_wait_xcnt 0x1
	v_mul_f32_e32 v2, v4, v6
	s_wait_loadcnt 0x0
	s_delay_alu instid0(VALU_DEP_1) | instskip(NEXT) | instid1(VALU_DEP_1)
	v_mul_f32_e32 v2, v2, v5
	v_mul_f32_e32 v2, v9, v2
	s_delay_alu instid0(VALU_DEP_1) | instskip(NEXT) | instid1(VALU_DEP_1)
	v_minmax_num_f32 v10, v2, s3, 0xc3600000
	v_and_b32_e32 v2, 0x7f800000, v10
	s_delay_alu instid0(VALU_DEP_1)
	v_cmp_ne_u64_e32 vcc_lo, 0x7f800000, v[2:3]
	v_mov_b32_e32 v2, 0x80
	s_wait_xcnt 0x0
	s_and_saveexec_b32 s6, vcc_lo
	s_cbranch_execz .LBB1_15
; %bb.17:                               ;   in Loop: Header=BB1_16 Depth=1
	v_and_b32_e32 v2, 0x7fffffff, v10
	s_delay_alu instid0(VALU_DEP_1) | instskip(SKIP_1) | instid1(SALU_CYCLE_1)
	v_cmp_gt_u64_e32 vcc_lo, 0x43700001, v[2:3]
                                        ; implicit-def: $vgpr2
	s_and_saveexec_b32 s0, vcc_lo
	s_xor_b32 s7, exec_lo, s0
	s_cbranch_execz .LBB1_25
; %bb.18:                               ;   in Loop: Header=BB1_16 Depth=1
	v_mov_b32_e32 v2, 0
	s_mov_b32 s13, exec_lo
	v_cmpx_ne_u32_e32 0, v10
	s_cbranch_execz .LBB1_24
; %bb.19:                               ;   in Loop: Header=BB1_16 Depth=1
	v_bfe_u32 v11, v10, 23, 8
	v_and_b32_e32 v4, 0x7fffff, v10
	s_delay_alu instid0(VALU_DEP_2) | instskip(SKIP_2) | instid1(VALU_DEP_3)
	v_sub_nc_u32_e64 v2, 0x78, v11 clamp
	v_cmp_eq_u32_e32 vcc_lo, 0, v11
	v_add_nc_u32_e32 v11, 0xffffff89, v11
	v_cndmask_b32_e64 v16, v2, 0x77, vcc_lo
	v_or_b32_e32 v2, 0x800000, v4
	s_delay_alu instid0(VALU_DEP_2) | instskip(NEXT) | instid1(VALU_DEP_2)
	v_dual_add_nc_u32 v5, 20, v16 :: v_dual_add_nc_u32 v12, 19, v16
	v_cndmask_b32_e32 v2, v2, v4, vcc_lo
	s_delay_alu instid0(VALU_DEP_2) | instskip(NEXT) | instid1(VALU_DEP_3)
	v_lshlrev_b64_e64 v[4:5], v5, -1
	v_lshlrev_b64_e64 v[12:13], v12, 1
	s_delay_alu instid0(VALU_DEP_3) | instskip(NEXT) | instid1(VALU_DEP_3)
	v_lshrrev_b64 v[14:15], v16, v[2:3]
	v_bfi_b32 v5, v5, 0, 0
	s_delay_alu instid0(VALU_DEP_4) | instskip(NEXT) | instid1(VALU_DEP_3)
	v_bfi_b32 v4, v4, 0, v2
	v_and_b32_e32 v2, 0x100000, v14
	s_delay_alu instid0(VALU_DEP_2) | instskip(NEXT) | instid1(VALU_DEP_2)
	v_cmp_eq_u64_e64 s0, v[4:5], v[12:13]
	v_cmp_eq_u64_e64 s1, 0, v[2:3]
	v_cndmask_b32_e64 v2, v11, 0xffffff8a, vcc_lo
	v_lshrrev_b32_e32 v4, 23, v14
                                        ; implicit-def: $vgpr11
	s_delay_alu instid0(VALU_DEP_1) | instskip(SKIP_3) | instid1(VALU_DEP_2)
	v_add3_u32 v12, v2, v16, v4
	s_and_b32 vcc_lo, s1, s0
	s_mov_b32 s0, exec_lo
	v_subrev_co_ci_u32_e64 v5, null, 0, v14, vcc_lo
	v_add_nc_u32_e32 v13, -1, v12
	s_delay_alu instid0(VALU_DEP_2) | instskip(NEXT) | instid1(VALU_DEP_1)
	v_and_b32_e32 v2, 0xfffff, v5
                                        ; implicit-def: $vgpr4_vgpr5
	v_add_nc_u32_e32 v2, v2, v14
	s_delay_alu instid0(VALU_DEP_3)
	v_cmpx_ne_u32_e32 0, v13
	s_xor_b32 s0, exec_lo, s0
	s_cbranch_execz .LBB1_21
; %bb.20:                               ;   in Loop: Header=BB1_16 Depth=1
	s_delay_alu instid0(VALU_DEP_2) | instskip(SKIP_2) | instid1(VALU_DEP_2)
	v_and_b32_e32 v14, 0x1000000, v2
	v_mov_b32_e32 v15, v3
	v_bfe_u32 v4, v2, 24, 1
	v_cmp_eq_u64_e32 vcc_lo, 0, v[14:15]
	s_delay_alu instid0(VALU_DEP_2)
	v_lshrrev_b64 v[4:5], v4, v[2:3]
	v_cndmask_b32_e32 v11, v12, v13, vcc_lo
.LBB1_21:                               ;   in Loop: Header=BB1_16 Depth=1
	s_and_not1_saveexec_b32 s0, s0
; %bb.22:                               ;   in Loop: Header=BB1_16 Depth=1
	v_mov_b64_e32 v[4:5], v[2:3]
	v_bfe_u32 v11, v2, 23, 1
; %bb.23:                               ;   in Loop: Header=BB1_16 Depth=1
	s_or_b32 exec_lo, exec_lo, s0
	s_delay_alu instid0(VALU_DEP_2) | instskip(NEXT) | instid1(VALU_DEP_2)
	v_lshrrev_b64 v[4:5], 20, v[4:5]
	v_dual_lshrrev_b32 v2, 24, v10 :: v_dual_min_i32 v10, 15, v11
	v_cmp_gt_i32_e32 vcc_lo, 16, v11
	v_cmp_eq_u32_e64 s0, 0, v11
	s_delay_alu instid0(VALU_DEP_3) | instskip(SKIP_1) | instid1(VALU_DEP_2)
	v_and_b32_e32 v2, 0x80, v2
	v_dual_cndmask_b32 v5, 0, v5 :: v_dual_cndmask_b32 v4, 7, v4
	v_lshl_or_b32 v2, v10, 3, v2
	s_delay_alu instid0(VALU_DEP_2) | instskip(NEXT) | instid1(VALU_DEP_2)
	v_cmp_eq_u64_e32 vcc_lo, 0, v[4:5]
	v_and_or_b32 v2, v4, 7, v2
	s_and_b32 s0, s0, vcc_lo
	s_delay_alu instid0(VALU_DEP_1) | instid1(SALU_CYCLE_1)
	v_cndmask_b32_e64 v2, v2, 0, s0
.LBB1_24:                               ;   in Loop: Header=BB1_16 Depth=1
	s_or_b32 exec_lo, exec_lo, s13
                                        ; implicit-def: $vgpr10
.LBB1_25:                               ;   in Loop: Header=BB1_16 Depth=1
	s_and_not1_saveexec_b32 s0, s7
	s_cbranch_execz .LBB1_14
; %bb.26:                               ;   in Loop: Header=BB1_16 Depth=1
	v_lshrrev_b32_e32 v2, 24, v10
	s_delay_alu instid0(VALU_DEP_1)
	v_or_b32_e32 v2, 0x7f, v2
	s_branch .LBB1_14
.LBB1_27:
	s_endpgm
	.section	.rodata,"a",@progbits
	.p2align	6, 0x0
	.amdhsa_kernel _ZN4vllm32rms_norm_static_fp8_quant_kernelIfN3c1015Float8_e4m3fnuzEEEvPT0_PKT_iS7_PKffii
		.amdhsa_group_segment_fixed_size 68
		.amdhsa_private_segment_fixed_size 0
		.amdhsa_kernarg_size 312
		.amdhsa_user_sgpr_count 2
		.amdhsa_user_sgpr_dispatch_ptr 0
		.amdhsa_user_sgpr_queue_ptr 0
		.amdhsa_user_sgpr_kernarg_segment_ptr 1
		.amdhsa_user_sgpr_dispatch_id 0
		.amdhsa_user_sgpr_kernarg_preload_length 0
		.amdhsa_user_sgpr_kernarg_preload_offset 0
		.amdhsa_user_sgpr_private_segment_size 0
		.amdhsa_wavefront_size32 1
		.amdhsa_uses_dynamic_stack 0
		.amdhsa_enable_private_segment 0
		.amdhsa_system_sgpr_workgroup_id_x 1
		.amdhsa_system_sgpr_workgroup_id_y 0
		.amdhsa_system_sgpr_workgroup_id_z 0
		.amdhsa_system_sgpr_workgroup_info 0
		.amdhsa_system_vgpr_workitem_id 0
		.amdhsa_next_free_vgpr 17
		.amdhsa_next_free_sgpr 18
		.amdhsa_named_barrier_count 0
		.amdhsa_reserve_vcc 1
		.amdhsa_float_round_mode_32 0
		.amdhsa_float_round_mode_16_64 0
		.amdhsa_float_denorm_mode_32 3
		.amdhsa_float_denorm_mode_16_64 3
		.amdhsa_fp16_overflow 0
		.amdhsa_memory_ordered 1
		.amdhsa_forward_progress 1
		.amdhsa_inst_pref_size 16
		.amdhsa_round_robin_scheduling 0
		.amdhsa_exception_fp_ieee_invalid_op 0
		.amdhsa_exception_fp_denorm_src 0
		.amdhsa_exception_fp_ieee_div_zero 0
		.amdhsa_exception_fp_ieee_overflow 0
		.amdhsa_exception_fp_ieee_underflow 0
		.amdhsa_exception_fp_ieee_inexact 0
		.amdhsa_exception_int_div_zero 0
	.end_amdhsa_kernel
	.section	.text._ZN4vllm32rms_norm_static_fp8_quant_kernelIfN3c1015Float8_e4m3fnuzEEEvPT0_PKT_iS7_PKffii,"axG",@progbits,_ZN4vllm32rms_norm_static_fp8_quant_kernelIfN3c1015Float8_e4m3fnuzEEEvPT0_PKT_iS7_PKffii,comdat
.Lfunc_end1:
	.size	_ZN4vllm32rms_norm_static_fp8_quant_kernelIfN3c1015Float8_e4m3fnuzEEEvPT0_PKT_iS7_PKffii, .Lfunc_end1-_ZN4vllm32rms_norm_static_fp8_quant_kernelIfN3c1015Float8_e4m3fnuzEEEvPT0_PKT_iS7_PKffii
                                        ; -- End function
	.set _ZN4vllm32rms_norm_static_fp8_quant_kernelIfN3c1015Float8_e4m3fnuzEEEvPT0_PKT_iS7_PKffii.num_vgpr, 17
	.set _ZN4vllm32rms_norm_static_fp8_quant_kernelIfN3c1015Float8_e4m3fnuzEEEvPT0_PKT_iS7_PKffii.num_agpr, 0
	.set _ZN4vllm32rms_norm_static_fp8_quant_kernelIfN3c1015Float8_e4m3fnuzEEEvPT0_PKT_iS7_PKffii.numbered_sgpr, 18
	.set _ZN4vllm32rms_norm_static_fp8_quant_kernelIfN3c1015Float8_e4m3fnuzEEEvPT0_PKT_iS7_PKffii.num_named_barrier, 0
	.set _ZN4vllm32rms_norm_static_fp8_quant_kernelIfN3c1015Float8_e4m3fnuzEEEvPT0_PKT_iS7_PKffii.private_seg_size, 0
	.set _ZN4vllm32rms_norm_static_fp8_quant_kernelIfN3c1015Float8_e4m3fnuzEEEvPT0_PKT_iS7_PKffii.uses_vcc, 1
	.set _ZN4vllm32rms_norm_static_fp8_quant_kernelIfN3c1015Float8_e4m3fnuzEEEvPT0_PKT_iS7_PKffii.uses_flat_scratch, 0
	.set _ZN4vllm32rms_norm_static_fp8_quant_kernelIfN3c1015Float8_e4m3fnuzEEEvPT0_PKT_iS7_PKffii.has_dyn_sized_stack, 0
	.set _ZN4vllm32rms_norm_static_fp8_quant_kernelIfN3c1015Float8_e4m3fnuzEEEvPT0_PKT_iS7_PKffii.has_recursion, 0
	.set _ZN4vllm32rms_norm_static_fp8_quant_kernelIfN3c1015Float8_e4m3fnuzEEEvPT0_PKT_iS7_PKffii.has_indirect_call, 0
	.section	.AMDGPU.csdata,"",@progbits
; Kernel info:
; codeLenInByte = 2004
; TotalNumSgprs: 20
; NumVgprs: 17
; ScratchSize: 0
; MemoryBound: 0
; FloatMode: 240
; IeeeMode: 1
; LDSByteSize: 68 bytes/workgroup (compile time only)
; SGPRBlocks: 0
; VGPRBlocks: 1
; NumSGPRsForWavesPerEU: 20
; NumVGPRsForWavesPerEU: 17
; NamedBarCnt: 0
; Occupancy: 16
; WaveLimiterHint : 0
; COMPUTE_PGM_RSRC2:SCRATCH_EN: 0
; COMPUTE_PGM_RSRC2:USER_SGPR: 2
; COMPUTE_PGM_RSRC2:TRAP_HANDLER: 0
; COMPUTE_PGM_RSRC2:TGID_X_EN: 1
; COMPUTE_PGM_RSRC2:TGID_Y_EN: 0
; COMPUTE_PGM_RSRC2:TGID_Z_EN: 0
; COMPUTE_PGM_RSRC2:TIDIG_COMP_CNT: 0
	.section	.text._ZN4vllm32rms_norm_static_fp8_quant_kernelIN3c104HalfENS1_13Float8_e4m3fnEEEvPT0_PKT_iS8_PKffii,"axG",@progbits,_ZN4vllm32rms_norm_static_fp8_quant_kernelIN3c104HalfENS1_13Float8_e4m3fnEEEvPT0_PKT_iS8_PKffii,comdat
	.protected	_ZN4vllm32rms_norm_static_fp8_quant_kernelIN3c104HalfENS1_13Float8_e4m3fnEEEvPT0_PKT_iS8_PKffii ; -- Begin function _ZN4vllm32rms_norm_static_fp8_quant_kernelIN3c104HalfENS1_13Float8_e4m3fnEEEvPT0_PKT_iS8_PKffii
	.globl	_ZN4vllm32rms_norm_static_fp8_quant_kernelIN3c104HalfENS1_13Float8_e4m3fnEEEvPT0_PKT_iS8_PKffii
	.p2align	8
	.type	_ZN4vllm32rms_norm_static_fp8_quant_kernelIN3c104HalfENS1_13Float8_e4m3fnEEEvPT0_PKT_iS8_PKffii,@function
_ZN4vllm32rms_norm_static_fp8_quant_kernelIN3c104HalfENS1_13Float8_e4m3fnEEEvPT0_PKT_iS8_PKffii: ; @_ZN4vllm32rms_norm_static_fp8_quant_kernelIN3c104HalfENS1_13Float8_e4m3fnEEEvPT0_PKT_iS8_PKffii
; %bb.0:
	s_clause 0x1
	s_load_b32 s12, s[0:1], 0x30
	s_load_b64 s[8:9], s[0:1], 0x8
	s_getreg_b32 s14, hwreg(HW_REG_IB_STS2, 6, 4)
	s_mov_b32 s3, exec_lo
                                        ; implicit-def: $sgpr15
                                        ; implicit-def: $sgpr16
	s_wait_kmcnt 0x0
	v_cmp_gt_i32_e64 s2, s12, v0
	v_cmpx_le_i32_e64 s12, v0
	s_xor_b32 s3, exec_lo, s3
	s_cbranch_execz .LBB2_2
; %bb.1:
	s_load_b32 s4, s[0:1], 0x44
	s_bfe_u32 s5, ttmp6, 0x4000c
	s_and_b32 s6, ttmp6, 15
	s_add_co_i32 s5, s5, 1
	s_delay_alu instid0(SALU_CYCLE_1) | instskip(NEXT) | instid1(SALU_CYCLE_1)
	s_mul_i32 s5, ttmp9, s5
	s_add_co_i32 s6, s6, s5
	s_cmp_eq_u32 s14, 0
	s_cselect_b32 s15, ttmp9, s6
	s_wait_kmcnt 0x0
	s_and_b32 s16, s4, 0xffff
.LBB2_2:
	s_or_saveexec_b32 s3, s3
	s_clause 0x2
	s_load_b128 s[4:7], s[0:1], 0x18
	s_load_b64 s[10:11], s[0:1], 0x0
	s_load_b32 s13, s[0:1], 0x10
	v_dual_mov_b32 v4, 0 :: v_dual_mov_b32 v2, s15
	v_mov_b32_e32 v1, s16
	s_xor_b32 exec_lo, exec_lo, s3
	s_cbranch_execz .LBB2_6
; %bb.3:
	s_load_b32 s15, s[0:1], 0x44
	s_bfe_u32 s16, ttmp6, 0x4000c
	s_and_b32 s17, ttmp6, 15
	s_add_co_i32 s16, s16, 1
	v_dual_mov_b32 v4, 0 :: v_dual_mov_b32 v1, v0
	s_mul_i32 s16, ttmp9, s16
	s_delay_alu instid0(SALU_CYCLE_1)
	s_add_co_i32 s17, s17, s16
	s_cmp_eq_u32 s14, 0
	s_mov_b32 s16, 0
	s_cselect_b32 s14, ttmp9, s17
	s_wait_kmcnt 0x0
	s_mul_i32 s17, s13, s14
	s_and_b32 s15, s15, 0xffff
.LBB2_4:                                ; =>This Inner Loop Header: Depth=1
	s_delay_alu instid0(SALU_CYCLE_1)
	v_dual_add_nc_u32 v2, s17, v1 :: v_dual_add_nc_u32 v1, s15, v1
	global_load_u16 v2, v2, s[8:9] scale_offset
	v_cmp_le_i32_e32 vcc_lo, s12, v1
	s_or_b32 s16, vcc_lo, s16
	s_wait_loadcnt 0x0
	v_fma_mix_f32 v4, v2, v2, v4 op_sel_hi:[1,1,0]
	s_and_not1_b32 exec_lo, exec_lo, s16
	s_cbranch_execnz .LBB2_4
; %bb.5:
	s_or_b32 exec_lo, exec_lo, s16
	v_dual_mov_b32 v2, s14 :: v_dual_mov_b32 v1, s15
.LBB2_6:
	s_or_b32 exec_lo, exec_lo, s3
	v_mbcnt_lo_u32_b32 v3, -1, 0
	v_and_b32_e32 v6, 0x3c0, v0
	s_mov_b32 s3, exec_lo
	s_delay_alu instid0(VALU_DEP_2) | instskip(NEXT) | instid1(VALU_DEP_2)
	v_cmp_ne_u32_e32 vcc_lo, 63, v3
	v_sub_nc_u32_e64 v6, v1, v6 clamp
	v_add_nc_u32_e32 v8, 1, v3
	v_add_co_ci_u32_e64 v5, null, 0, v3, vcc_lo
	v_cmp_gt_u32_e32 vcc_lo, 62, v3
	s_delay_alu instid0(VALU_DEP_2)
	v_lshlrev_b32_e32 v5, 2, v5
	v_cndmask_b32_e64 v7, 0, 2, vcc_lo
	v_cmp_lt_u32_e32 vcc_lo, v8, v6
	v_add_nc_u32_e32 v8, 2, v3
	ds_bpermute_b32 v5, v5, v4
	v_add_lshl_u32 v7, v7, v3, 2
	s_wait_dscnt 0x0
	v_add_f32_e32 v5, v4, v5
	s_delay_alu instid0(VALU_DEP_1)
	v_cndmask_b32_e32 v4, v4, v5, vcc_lo
	v_cmp_gt_u32_e32 vcc_lo, 60, v3
	ds_bpermute_b32 v5, v7, v4
	v_cndmask_b32_e64 v7, 0, 4, vcc_lo
	v_cmp_lt_u32_e32 vcc_lo, v8, v6
	v_add_nc_u32_e32 v8, 4, v3
	s_delay_alu instid0(VALU_DEP_3) | instskip(SKIP_2) | instid1(VALU_DEP_1)
	v_add_lshl_u32 v7, v7, v3, 2
	s_wait_dscnt 0x0
	v_add_f32_e32 v5, v4, v5
	v_cndmask_b32_e32 v4, v4, v5, vcc_lo
	v_cmp_gt_u32_e32 vcc_lo, 56, v3
	ds_bpermute_b32 v5, v7, v4
	v_cndmask_b32_e64 v7, 0, 8, vcc_lo
	v_cmp_lt_u32_e32 vcc_lo, v8, v6
	v_add_nc_u32_e32 v8, 8, v3
	s_delay_alu instid0(VALU_DEP_3) | instskip(SKIP_2) | instid1(VALU_DEP_1)
	v_add_lshl_u32 v7, v7, v3, 2
	s_wait_dscnt 0x0
	v_add_f32_e32 v5, v4, v5
	v_cndmask_b32_e32 v4, v4, v5, vcc_lo
	v_cmp_gt_u32_e32 vcc_lo, 48, v3
	ds_bpermute_b32 v5, v7, v4
	v_cndmask_b32_e64 v7, 0, 16, vcc_lo
	v_cmp_lt_u32_e32 vcc_lo, v8, v6
	s_delay_alu instid0(VALU_DEP_2) | instskip(SKIP_2) | instid1(VALU_DEP_1)
	v_add_lshl_u32 v7, v7, v3, 2
	s_wait_dscnt 0x0
	v_add_f32_e32 v5, v4, v5
	v_cndmask_b32_e32 v5, v4, v5, vcc_lo
	ds_bpermute_b32 v4, v7, v5
	v_add_nc_u32_e32 v7, 16, v3
	s_delay_alu instid0(VALU_DEP_1) | instskip(SKIP_2) | instid1(VALU_DEP_1)
	v_cmp_lt_u32_e32 vcc_lo, v7, v6
	s_wait_dscnt 0x0
	v_dual_add_f32 v8, v5, v4 :: v_dual_lshlrev_b32 v4, 2, v3
	v_dual_cndmask_b32 v5, v5, v8, vcc_lo :: v_dual_bitop2_b32 v8, 32, v3 bitop3:0x54
	ds_bpermute_b32 v7, v4, v5 offset:128
	v_cmp_lt_u32_e32 vcc_lo, v8, v6
	s_wait_dscnt 0x0
	v_add_f32_e32 v7, v5, v7
	s_delay_alu instid0(VALU_DEP_1)
	v_cndmask_b32_e32 v5, v5, v7, vcc_lo
	v_cmpx_eq_u32_e32 0, v3
; %bb.7:
	v_lshrrev_b32_e32 v6, 4, v0
	s_delay_alu instid0(VALU_DEP_1)
	v_and_b32_e32 v6, 60, v6
	ds_store_b32 v6, v5
; %bb.8:
	s_or_b32 exec_lo, exec_lo, s3
	s_delay_alu instid0(SALU_CYCLE_1)
	s_mov_b32 s14, exec_lo
	s_wait_dscnt 0x0
	s_barrier_signal -1
	s_barrier_wait -1
	v_cmpx_gt_u32_e32 16, v0
	s_cbranch_execz .LBB2_10
; %bb.9:
	ds_load_b32 v5, v4
	v_dual_add_nc_u32 v8, 63, v1 :: v_dual_bitop2_b32 v6, 15, v3 bitop3:0x40
	v_or_b32_e32 v4, 32, v4
	s_delay_alu instid0(VALU_DEP_2) | instskip(NEXT) | instid1(VALU_DEP_3)
	v_cmp_ne_u32_e32 vcc_lo, 15, v6
	v_dual_lshrrev_b32 v8, 6, v8 :: v_dual_add_nc_u32 v11, 2, v6
	v_cmp_gt_u32_e64 s3, 12, v6
	v_add_co_ci_u32_e64 v7, null, 0, v3, vcc_lo
	v_cmp_gt_u32_e32 vcc_lo, 14, v6
	s_delay_alu instid0(VALU_DEP_2)
	v_lshlrev_b32_e32 v7, 2, v7
	v_cndmask_b32_e64 v9, 0, 2, vcc_lo
	s_wait_dscnt 0x0
	ds_bpermute_b32 v7, v7, v5
	v_add_nc_u32_e32 v10, 1, v6
	v_add_lshl_u32 v9, v9, v3, 2
	s_wait_dscnt 0x0
	v_add_f32_e32 v7, v5, v7
	s_delay_alu instid0(VALU_DEP_3) | instskip(SKIP_2) | instid1(VALU_DEP_4)
	v_cmp_lt_u32_e32 vcc_lo, v10, v8
	v_cndmask_b32_e64 v10, 0, 4, s3
	v_cmp_lt_u32_e64 s3, v11, v8
	v_cndmask_b32_e32 v7, v5, v7, vcc_lo
	s_delay_alu instid0(VALU_DEP_3) | instskip(SKIP_3) | instid1(VALU_DEP_1)
	v_add_lshl_u32 v3, v10, v3, 2
	ds_bpermute_b32 v9, v9, v7
	s_wait_dscnt 0x0
	v_add_f32_e32 v9, v7, v9
	v_dual_cndmask_b32 v7, v7, v9, s3 :: v_dual_add_nc_u32 v9, 4, v6
	ds_bpermute_b32 v3, v3, v7
	v_cmp_lt_u32_e64 s3, v9, v8
	s_wait_dscnt 0x0
	v_add_f32_e32 v3, v7, v3
	s_delay_alu instid0(VALU_DEP_1) | instskip(SKIP_3) | instid1(VALU_DEP_1)
	v_cndmask_b32_e64 v3, v7, v3, s3
	ds_bpermute_b32 v4, v4, v3
	s_wait_dscnt 0x0
	v_dual_add_nc_u32 v6, 8, v6 :: v_dual_add_f32 v4, v3, v4
	v_cmp_lt_u32_e64 s3, v6, v8
	s_delay_alu instid0(VALU_DEP_1) | instskip(NEXT) | instid1(VALU_DEP_1)
	v_cndmask_b32_e64 v3, v3, v4, s3
	v_cndmask_b32_e32 v5, v5, v3, vcc_lo
.LBB2_10:
	s_or_b32 exec_lo, exec_lo, s14
	s_delay_alu instid0(SALU_CYCLE_1)
	s_mov_b32 s3, exec_lo
	v_cmpx_eq_u32_e32 0, v0
	s_cbranch_execz .LBB2_12
; %bb.11:
	s_cvt_f32_i32 s14, s12
	s_wait_xcnt 0x0
	s_load_b32 s0, s[0:1], 0x28
	s_delay_alu instid0(SALU_CYCLE_1) | instskip(SKIP_1) | instid1(VALU_DEP_2)
	v_div_scale_f32 v3, null, s14, s14, v5
	v_div_scale_f32 v7, vcc_lo, v5, s14, v5
	v_rcp_f32_e32 v4, v3
	v_nop
	s_delay_alu instid0(TRANS32_DEP_1) | instskip(NEXT) | instid1(VALU_DEP_1)
	v_fma_f32 v6, -v3, v4, 1.0
	v_fmac_f32_e32 v4, v6, v4
	s_delay_alu instid0(VALU_DEP_1) | instskip(NEXT) | instid1(VALU_DEP_1)
	v_mul_f32_e32 v6, v7, v4
	v_fma_f32 v8, -v3, v6, v7
	s_delay_alu instid0(VALU_DEP_1) | instskip(NEXT) | instid1(VALU_DEP_1)
	v_fmac_f32_e32 v6, v8, v4
	v_fma_f32 v3, -v3, v6, v7
	s_delay_alu instid0(VALU_DEP_1) | instskip(NEXT) | instid1(VALU_DEP_1)
	v_div_fmas_f32 v3, v3, v4, v6
	v_div_fixup_f32 v3, v3, s14, v5
	s_wait_kmcnt 0x0
	s_delay_alu instid0(VALU_DEP_1) | instskip(NEXT) | instid1(VALU_DEP_1)
	v_add_f32_e32 v3, s0, v3
	v_mul_f32_e32 v4, 0x4b800000, v3
	v_cmp_gt_f32_e32 vcc_lo, 0x800000, v3
	s_delay_alu instid0(VALU_DEP_2) | instskip(NEXT) | instid1(VALU_DEP_1)
	v_cndmask_b32_e32 v3, v3, v4, vcc_lo
	v_rsq_f32_e32 v3, v3
	v_nop
	s_delay_alu instid0(TRANS32_DEP_1) | instskip(NEXT) | instid1(VALU_DEP_1)
	v_mul_f32_e32 v4, 0x45800000, v3
	v_dual_cndmask_b32 v3, v3, v4 :: v_dual_mov_b32 v4, 0
	ds_store_b32 v4, v3 offset:64
.LBB2_12:
	s_or_b32 exec_lo, exec_lo, s3
	s_wait_dscnt 0x0
	s_barrier_signal -1
	s_barrier_wait -1
	s_wait_xcnt 0x0
	s_and_saveexec_b32 s0, s2
	s_cbranch_execz .LBB2_33
; %bb.13:
	s_wait_kmcnt 0x0
	s_load_b32 s0, s[6:7], 0x0
	v_mul_lo_u32 v7, s13, v2
	v_mul_lo_u32 v8, s12, v2
	s_mov_b32 s2, 0
	s_mov_b32 s3, 0x43e00000
	s_wait_kmcnt 0x0
	v_div_scale_f32 v3, null, s0, s0, 1.0
	v_div_scale_f32 v9, vcc_lo, 1.0, s0, 1.0
	s_delay_alu instid0(VALU_DEP_2)
	v_rcp_f32_e32 v4, v3
	v_xor_b32_e32 v5, 0x80000000, v3
	s_delay_alu instid0(TRANS32_DEP_1) | instid1(VALU_DEP_1)
	v_fma_f32 v3, v5, v4, 1.0
	s_delay_alu instid0(VALU_DEP_1) | instskip(NEXT) | instid1(VALU_DEP_1)
	v_dual_fmac_f32 v4, v3, v4 :: v_dual_mov_b32 v3, 0
	v_mul_f32_e32 v10, v9, v4
	s_delay_alu instid0(VALU_DEP_1) | instskip(NEXT) | instid1(VALU_DEP_1)
	v_fma_f32 v6, v5, v10, v9
	v_fmac_f32_e32 v10, v6, v4
	ds_load_b32 v6, v3 offset:64
	v_fmac_f32_e32 v9, v5, v10
	s_delay_alu instid0(VALU_DEP_1) | instskip(NEXT) | instid1(VALU_DEP_1)
	v_div_fmas_f32 v2, v9, v4, v10
	v_div_fixup_f32 v9, v2, s0, 1.0
	s_branch .LBB2_15
.LBB2_14:                               ;   in Loop: Header=BB2_15 Depth=1
	s_or_b32 exec_lo, exec_lo, s0
	v_add_nc_u32_e32 v4, v8, v0
	v_add_nc_u32_e32 v0, v0, v1
	global_store_b8 v4, v2, s[10:11]
	v_cmp_le_i32_e32 vcc_lo, s12, v0
	s_or_b32 s2, vcc_lo, s2
	s_wait_xcnt 0x0
	s_and_not1_b32 exec_lo, exec_lo, s2
	s_cbranch_execz .LBB2_33
.LBB2_15:                               ; =>This Inner Loop Header: Depth=1
	v_add_nc_u32_e32 v2, v7, v0
	global_load_u16 v4, v2, s[8:9] scale_offset
	global_load_u16 v5, v0, s[4:5] scale_offset
	s_wait_loadcnt_dscnt 0x100
	s_wait_xcnt 0x1
	v_fma_mixlo_f16 v2, v6, v4, 0 op_sel_hi:[0,1,0]
	s_wait_loadcnt 0x0
	s_delay_alu instid0(VALU_DEP_1) | instskip(NEXT) | instid1(VALU_DEP_1)
	v_mul_f16_e32 v2, v5, v2
	v_cvt_f32_f16_e32 v2, v2
	s_delay_alu instid0(VALU_DEP_1) | instskip(NEXT) | instid1(VALU_DEP_1)
	v_mul_f32_e32 v2, v9, v2
	v_minmax_num_f32 v4, v2, s3, 0xc3e00000
	s_delay_alu instid0(VALU_DEP_1) | instskip(SKIP_1) | instid1(VALU_DEP_2)
	v_and_b32_e32 v2, 0x7f800000, v4
	v_lshrrev_b32_e32 v5, 24, v4
	v_cmp_ne_u64_e32 vcc_lo, 0x7f800000, v[2:3]
                                        ; implicit-def: $vgpr2
	s_wait_xcnt 0x0
	s_and_saveexec_b32 s0, vcc_lo
	s_delay_alu instid0(SALU_CYCLE_1)
	s_xor_b32 s6, exec_lo, s0
	s_cbranch_execz .LBB2_31
; %bb.16:                               ;   in Loop: Header=BB2_15 Depth=1
	v_and_b32_e32 v2, 0x7fffffff, v4
	v_and_b32_e32 v10, 0x80, v5
	s_delay_alu instid0(VALU_DEP_2) | instskip(SKIP_1) | instid1(SALU_CYCLE_1)
	v_cmp_gt_u64_e32 vcc_lo, 0x43e00001, v[2:3]
                                        ; implicit-def: $vgpr2
	s_and_saveexec_b32 s0, vcc_lo
	s_xor_b32 s7, exec_lo, s0
	s_cbranch_execz .LBB2_28
; %bb.17:                               ;   in Loop: Header=BB2_15 Depth=1
	v_mov_b32_e32 v2, 0
	s_mov_b32 s13, exec_lo
	v_cmpx_ne_u32_e32 0, v4
	s_cbranch_execz .LBB2_27
; %bb.18:                               ;   in Loop: Header=BB2_15 Depth=1
	v_bfe_u32 v11, v4, 23, 8
	v_and_b32_e32 v4, 0x7fffff, v4
	s_delay_alu instid0(VALU_DEP_2) | instskip(SKIP_2) | instid1(VALU_DEP_3)
	v_sub_nc_u32_e64 v2, 0x79, v11 clamp
	v_cmp_eq_u32_e32 vcc_lo, 0, v11
	v_add_nc_u32_e32 v11, 0xffffff88, v11
	v_cndmask_b32_e64 v16, v2, 0x78, vcc_lo
	v_or_b32_e32 v2, 0x800000, v4
	s_delay_alu instid0(VALU_DEP_2) | instskip(NEXT) | instid1(VALU_DEP_2)
	v_dual_add_nc_u32 v5, 20, v16 :: v_dual_add_nc_u32 v12, 19, v16
	v_cndmask_b32_e32 v2, v2, v4, vcc_lo
	s_delay_alu instid0(VALU_DEP_2) | instskip(NEXT) | instid1(VALU_DEP_3)
	v_lshlrev_b64_e64 v[4:5], v5, -1
	v_lshlrev_b64_e64 v[12:13], v12, 1
	s_delay_alu instid0(VALU_DEP_3) | instskip(NEXT) | instid1(VALU_DEP_3)
	v_lshrrev_b64 v[14:15], v16, v[2:3]
	v_bfi_b32 v5, v5, 0, 0
	s_delay_alu instid0(VALU_DEP_4) | instskip(NEXT) | instid1(VALU_DEP_3)
	v_bfi_b32 v4, v4, 0, v2
	v_and_b32_e32 v2, 0x100000, v14
	s_delay_alu instid0(VALU_DEP_2) | instskip(NEXT) | instid1(VALU_DEP_2)
	v_cmp_eq_u64_e64 s0, v[4:5], v[12:13]
	v_cmp_eq_u64_e64 s1, 0, v[2:3]
	v_cndmask_b32_e64 v2, v11, 0xffffff89, vcc_lo
	v_lshrrev_b32_e32 v4, 23, v14
                                        ; implicit-def: $vgpr11
	s_delay_alu instid0(VALU_DEP_1) | instskip(SKIP_3) | instid1(VALU_DEP_2)
	v_add3_u32 v12, v2, v16, v4
	s_and_b32 vcc_lo, s1, s0
	s_mov_b32 s0, exec_lo
	v_subrev_co_ci_u32_e64 v5, null, 0, v14, vcc_lo
	v_add_nc_u32_e32 v13, -1, v12
	s_delay_alu instid0(VALU_DEP_2) | instskip(NEXT) | instid1(VALU_DEP_1)
	v_and_b32_e32 v2, 0xfffff, v5
                                        ; implicit-def: $vgpr4_vgpr5
	v_add_nc_u32_e32 v2, v2, v14
	s_delay_alu instid0(VALU_DEP_3)
	v_cmpx_ne_u32_e32 0, v13
	s_xor_b32 s0, exec_lo, s0
	s_cbranch_execz .LBB2_20
; %bb.19:                               ;   in Loop: Header=BB2_15 Depth=1
	s_delay_alu instid0(VALU_DEP_2) | instskip(SKIP_2) | instid1(VALU_DEP_2)
	v_and_b32_e32 v14, 0x1000000, v2
	v_mov_b32_e32 v15, v3
	v_bfe_u32 v4, v2, 24, 1
	v_cmp_eq_u64_e32 vcc_lo, 0, v[14:15]
	s_delay_alu instid0(VALU_DEP_2)
	v_lshrrev_b64 v[4:5], v4, v[2:3]
	v_cndmask_b32_e32 v11, v12, v13, vcc_lo
.LBB2_20:                               ;   in Loop: Header=BB2_15 Depth=1
	s_and_not1_saveexec_b32 s0, s0
; %bb.21:                               ;   in Loop: Header=BB2_15 Depth=1
	v_mov_b64_e32 v[4:5], v[2:3]
	v_bfe_u32 v11, v2, 23, 1
; %bb.22:                               ;   in Loop: Header=BB2_15 Depth=1
	s_or_b32 exec_lo, exec_lo, s0
	s_delay_alu instid0(VALU_DEP_2) | instskip(NEXT) | instid1(VALU_DEP_2)
	v_lshrrev_b64 v[4:5], 20, v[4:5]
	v_cmp_gt_i32_e32 vcc_lo, 16, v11
	v_cmp_ne_u32_e64 s0, 0, v11
                                        ; implicit-def: $vgpr2
	s_delay_alu instid0(VALU_DEP_3) | instskip(NEXT) | instid1(VALU_DEP_1)
	v_dual_cndmask_b32 v5, 0, v5 :: v_dual_cndmask_b32 v4, 7, v4
	v_cmp_ne_u64_e32 vcc_lo, 0, v[4:5]
	s_or_b32 s0, s0, vcc_lo
	s_delay_alu instid0(SALU_CYCLE_1) | instskip(NEXT) | instid1(SALU_CYCLE_1)
	s_and_saveexec_b32 s1, s0
	s_xor_b32 s0, exec_lo, s1
; %bb.23:                               ;   in Loop: Header=BB2_15 Depth=1
	v_min_i32_e32 v2, 15, v11
	s_delay_alu instid0(VALU_DEP_1) | instskip(NEXT) | instid1(VALU_DEP_1)
	v_lshl_or_b32 v2, v2, 3, v10
                                        ; implicit-def: $vgpr10
	v_and_or_b32 v2, v4, 7, v2
; %bb.24:                               ;   in Loop: Header=BB2_15 Depth=1
	s_and_not1_saveexec_b32 s0, s0
; %bb.25:                               ;   in Loop: Header=BB2_15 Depth=1
	v_mov_b32_e32 v2, v10
; %bb.26:                               ;   in Loop: Header=BB2_15 Depth=1
	s_or_b32 exec_lo, exec_lo, s0
.LBB2_27:                               ;   in Loop: Header=BB2_15 Depth=1
	s_delay_alu instid0(SALU_CYCLE_1)
	s_or_b32 exec_lo, exec_lo, s13
                                        ; implicit-def: $vgpr10
.LBB2_28:                               ;   in Loop: Header=BB2_15 Depth=1
	s_and_not1_saveexec_b32 s0, s7
; %bb.29:                               ;   in Loop: Header=BB2_15 Depth=1
	v_or_b32_e32 v2, 0x7e, v10
; %bb.30:                               ;   in Loop: Header=BB2_15 Depth=1
	s_or_b32 exec_lo, exec_lo, s0
                                        ; implicit-def: $vgpr5
.LBB2_31:                               ;   in Loop: Header=BB2_15 Depth=1
	s_and_not1_saveexec_b32 s0, s6
	s_cbranch_execz .LBB2_14
; %bb.32:                               ;   in Loop: Header=BB2_15 Depth=1
	v_or_b32_e32 v2, 0x7f, v5
	s_branch .LBB2_14
.LBB2_33:
	s_endpgm
	.section	.rodata,"a",@progbits
	.p2align	6, 0x0
	.amdhsa_kernel _ZN4vllm32rms_norm_static_fp8_quant_kernelIN3c104HalfENS1_13Float8_e4m3fnEEEvPT0_PKT_iS8_PKffii
		.amdhsa_group_segment_fixed_size 68
		.amdhsa_private_segment_fixed_size 0
		.amdhsa_kernarg_size 312
		.amdhsa_user_sgpr_count 2
		.amdhsa_user_sgpr_dispatch_ptr 0
		.amdhsa_user_sgpr_queue_ptr 0
		.amdhsa_user_sgpr_kernarg_segment_ptr 1
		.amdhsa_user_sgpr_dispatch_id 0
		.amdhsa_user_sgpr_kernarg_preload_length 0
		.amdhsa_user_sgpr_kernarg_preload_offset 0
		.amdhsa_user_sgpr_private_segment_size 0
		.amdhsa_wavefront_size32 1
		.amdhsa_uses_dynamic_stack 0
		.amdhsa_enable_private_segment 0
		.amdhsa_system_sgpr_workgroup_id_x 1
		.amdhsa_system_sgpr_workgroup_id_y 0
		.amdhsa_system_sgpr_workgroup_id_z 0
		.amdhsa_system_sgpr_workgroup_info 0
		.amdhsa_system_vgpr_workitem_id 0
		.amdhsa_next_free_vgpr 17
		.amdhsa_next_free_sgpr 18
		.amdhsa_named_barrier_count 0
		.amdhsa_reserve_vcc 1
		.amdhsa_float_round_mode_32 0
		.amdhsa_float_round_mode_16_64 0
		.amdhsa_float_denorm_mode_32 3
		.amdhsa_float_denorm_mode_16_64 3
		.amdhsa_fp16_overflow 0
		.amdhsa_memory_ordered 1
		.amdhsa_forward_progress 1
		.amdhsa_inst_pref_size 16
		.amdhsa_round_robin_scheduling 0
		.amdhsa_exception_fp_ieee_invalid_op 0
		.amdhsa_exception_fp_denorm_src 0
		.amdhsa_exception_fp_ieee_div_zero 0
		.amdhsa_exception_fp_ieee_overflow 0
		.amdhsa_exception_fp_ieee_underflow 0
		.amdhsa_exception_fp_ieee_inexact 0
		.amdhsa_exception_int_div_zero 0
	.end_amdhsa_kernel
	.section	.text._ZN4vllm32rms_norm_static_fp8_quant_kernelIN3c104HalfENS1_13Float8_e4m3fnEEEvPT0_PKT_iS8_PKffii,"axG",@progbits,_ZN4vllm32rms_norm_static_fp8_quant_kernelIN3c104HalfENS1_13Float8_e4m3fnEEEvPT0_PKT_iS8_PKffii,comdat
.Lfunc_end2:
	.size	_ZN4vllm32rms_norm_static_fp8_quant_kernelIN3c104HalfENS1_13Float8_e4m3fnEEEvPT0_PKT_iS8_PKffii, .Lfunc_end2-_ZN4vllm32rms_norm_static_fp8_quant_kernelIN3c104HalfENS1_13Float8_e4m3fnEEEvPT0_PKT_iS8_PKffii
                                        ; -- End function
	.set _ZN4vllm32rms_norm_static_fp8_quant_kernelIN3c104HalfENS1_13Float8_e4m3fnEEEvPT0_PKT_iS8_PKffii.num_vgpr, 17
	.set _ZN4vllm32rms_norm_static_fp8_quant_kernelIN3c104HalfENS1_13Float8_e4m3fnEEEvPT0_PKT_iS8_PKffii.num_agpr, 0
	.set _ZN4vllm32rms_norm_static_fp8_quant_kernelIN3c104HalfENS1_13Float8_e4m3fnEEEvPT0_PKT_iS8_PKffii.numbered_sgpr, 18
	.set _ZN4vllm32rms_norm_static_fp8_quant_kernelIN3c104HalfENS1_13Float8_e4m3fnEEEvPT0_PKT_iS8_PKffii.num_named_barrier, 0
	.set _ZN4vllm32rms_norm_static_fp8_quant_kernelIN3c104HalfENS1_13Float8_e4m3fnEEEvPT0_PKT_iS8_PKffii.private_seg_size, 0
	.set _ZN4vllm32rms_norm_static_fp8_quant_kernelIN3c104HalfENS1_13Float8_e4m3fnEEEvPT0_PKT_iS8_PKffii.uses_vcc, 1
	.set _ZN4vllm32rms_norm_static_fp8_quant_kernelIN3c104HalfENS1_13Float8_e4m3fnEEEvPT0_PKT_iS8_PKffii.uses_flat_scratch, 0
	.set _ZN4vllm32rms_norm_static_fp8_quant_kernelIN3c104HalfENS1_13Float8_e4m3fnEEEvPT0_PKT_iS8_PKffii.has_dyn_sized_stack, 0
	.set _ZN4vllm32rms_norm_static_fp8_quant_kernelIN3c104HalfENS1_13Float8_e4m3fnEEEvPT0_PKT_iS8_PKffii.has_recursion, 0
	.set _ZN4vllm32rms_norm_static_fp8_quant_kernelIN3c104HalfENS1_13Float8_e4m3fnEEEvPT0_PKT_iS8_PKffii.has_indirect_call, 0
	.section	.AMDGPU.csdata,"",@progbits
; Kernel info:
; codeLenInByte = 2028
; TotalNumSgprs: 20
; NumVgprs: 17
; ScratchSize: 0
; MemoryBound: 0
; FloatMode: 240
; IeeeMode: 1
; LDSByteSize: 68 bytes/workgroup (compile time only)
; SGPRBlocks: 0
; VGPRBlocks: 1
; NumSGPRsForWavesPerEU: 20
; NumVGPRsForWavesPerEU: 17
; NamedBarCnt: 0
; Occupancy: 16
; WaveLimiterHint : 0
; COMPUTE_PGM_RSRC2:SCRATCH_EN: 0
; COMPUTE_PGM_RSRC2:USER_SGPR: 2
; COMPUTE_PGM_RSRC2:TRAP_HANDLER: 0
; COMPUTE_PGM_RSRC2:TGID_X_EN: 1
; COMPUTE_PGM_RSRC2:TGID_Y_EN: 0
; COMPUTE_PGM_RSRC2:TGID_Z_EN: 0
; COMPUTE_PGM_RSRC2:TIDIG_COMP_CNT: 0
	.section	.text._ZN4vllm32rms_norm_static_fp8_quant_kernelIN3c104HalfENS1_15Float8_e4m3fnuzEEEvPT0_PKT_iS8_PKffii,"axG",@progbits,_ZN4vllm32rms_norm_static_fp8_quant_kernelIN3c104HalfENS1_15Float8_e4m3fnuzEEEvPT0_PKT_iS8_PKffii,comdat
	.protected	_ZN4vllm32rms_norm_static_fp8_quant_kernelIN3c104HalfENS1_15Float8_e4m3fnuzEEEvPT0_PKT_iS8_PKffii ; -- Begin function _ZN4vllm32rms_norm_static_fp8_quant_kernelIN3c104HalfENS1_15Float8_e4m3fnuzEEEvPT0_PKT_iS8_PKffii
	.globl	_ZN4vllm32rms_norm_static_fp8_quant_kernelIN3c104HalfENS1_15Float8_e4m3fnuzEEEvPT0_PKT_iS8_PKffii
	.p2align	8
	.type	_ZN4vllm32rms_norm_static_fp8_quant_kernelIN3c104HalfENS1_15Float8_e4m3fnuzEEEvPT0_PKT_iS8_PKffii,@function
_ZN4vllm32rms_norm_static_fp8_quant_kernelIN3c104HalfENS1_15Float8_e4m3fnuzEEEvPT0_PKT_iS8_PKffii: ; @_ZN4vllm32rms_norm_static_fp8_quant_kernelIN3c104HalfENS1_15Float8_e4m3fnuzEEEvPT0_PKT_iS8_PKffii
; %bb.0:
	s_clause 0x1
	s_load_b32 s12, s[0:1], 0x30
	s_load_b64 s[8:9], s[0:1], 0x8
	s_getreg_b32 s14, hwreg(HW_REG_IB_STS2, 6, 4)
	s_mov_b32 s3, exec_lo
                                        ; implicit-def: $sgpr15
                                        ; implicit-def: $sgpr16
	s_wait_kmcnt 0x0
	v_cmp_gt_i32_e64 s2, s12, v0
	v_cmpx_le_i32_e64 s12, v0
	s_xor_b32 s3, exec_lo, s3
	s_cbranch_execz .LBB3_2
; %bb.1:
	s_load_b32 s4, s[0:1], 0x44
	s_bfe_u32 s5, ttmp6, 0x4000c
	s_and_b32 s6, ttmp6, 15
	s_add_co_i32 s5, s5, 1
	s_delay_alu instid0(SALU_CYCLE_1) | instskip(NEXT) | instid1(SALU_CYCLE_1)
	s_mul_i32 s5, ttmp9, s5
	s_add_co_i32 s6, s6, s5
	s_cmp_eq_u32 s14, 0
	s_cselect_b32 s15, ttmp9, s6
	s_wait_kmcnt 0x0
	s_and_b32 s16, s4, 0xffff
.LBB3_2:
	s_or_saveexec_b32 s3, s3
	s_clause 0x2
	s_load_b128 s[4:7], s[0:1], 0x18
	s_load_b64 s[10:11], s[0:1], 0x0
	s_load_b32 s13, s[0:1], 0x10
	v_dual_mov_b32 v4, 0 :: v_dual_mov_b32 v2, s15
	v_mov_b32_e32 v1, s16
	s_xor_b32 exec_lo, exec_lo, s3
	s_cbranch_execz .LBB3_6
; %bb.3:
	s_load_b32 s15, s[0:1], 0x44
	s_bfe_u32 s16, ttmp6, 0x4000c
	s_and_b32 s17, ttmp6, 15
	s_add_co_i32 s16, s16, 1
	v_dual_mov_b32 v4, 0 :: v_dual_mov_b32 v1, v0
	s_mul_i32 s16, ttmp9, s16
	s_delay_alu instid0(SALU_CYCLE_1)
	s_add_co_i32 s17, s17, s16
	s_cmp_eq_u32 s14, 0
	s_mov_b32 s16, 0
	s_cselect_b32 s14, ttmp9, s17
	s_wait_kmcnt 0x0
	s_mul_i32 s17, s13, s14
	s_and_b32 s15, s15, 0xffff
.LBB3_4:                                ; =>This Inner Loop Header: Depth=1
	s_delay_alu instid0(SALU_CYCLE_1)
	v_dual_add_nc_u32 v2, s17, v1 :: v_dual_add_nc_u32 v1, s15, v1
	global_load_u16 v2, v2, s[8:9] scale_offset
	v_cmp_le_i32_e32 vcc_lo, s12, v1
	s_or_b32 s16, vcc_lo, s16
	s_wait_loadcnt 0x0
	v_fma_mix_f32 v4, v2, v2, v4 op_sel_hi:[1,1,0]
	s_and_not1_b32 exec_lo, exec_lo, s16
	s_cbranch_execnz .LBB3_4
; %bb.5:
	s_or_b32 exec_lo, exec_lo, s16
	v_dual_mov_b32 v2, s14 :: v_dual_mov_b32 v1, s15
.LBB3_6:
	s_or_b32 exec_lo, exec_lo, s3
	v_mbcnt_lo_u32_b32 v3, -1, 0
	v_and_b32_e32 v6, 0x3c0, v0
	s_mov_b32 s3, exec_lo
	s_delay_alu instid0(VALU_DEP_2) | instskip(NEXT) | instid1(VALU_DEP_2)
	v_cmp_ne_u32_e32 vcc_lo, 63, v3
	v_sub_nc_u32_e64 v6, v1, v6 clamp
	v_add_nc_u32_e32 v8, 1, v3
	v_add_co_ci_u32_e64 v5, null, 0, v3, vcc_lo
	v_cmp_gt_u32_e32 vcc_lo, 62, v3
	s_delay_alu instid0(VALU_DEP_2)
	v_lshlrev_b32_e32 v5, 2, v5
	v_cndmask_b32_e64 v7, 0, 2, vcc_lo
	v_cmp_lt_u32_e32 vcc_lo, v8, v6
	v_add_nc_u32_e32 v8, 2, v3
	ds_bpermute_b32 v5, v5, v4
	v_add_lshl_u32 v7, v7, v3, 2
	s_wait_dscnt 0x0
	v_add_f32_e32 v5, v4, v5
	s_delay_alu instid0(VALU_DEP_1)
	v_cndmask_b32_e32 v4, v4, v5, vcc_lo
	v_cmp_gt_u32_e32 vcc_lo, 60, v3
	ds_bpermute_b32 v5, v7, v4
	v_cndmask_b32_e64 v7, 0, 4, vcc_lo
	v_cmp_lt_u32_e32 vcc_lo, v8, v6
	v_add_nc_u32_e32 v8, 4, v3
	s_delay_alu instid0(VALU_DEP_3) | instskip(SKIP_2) | instid1(VALU_DEP_1)
	v_add_lshl_u32 v7, v7, v3, 2
	s_wait_dscnt 0x0
	v_add_f32_e32 v5, v4, v5
	v_cndmask_b32_e32 v4, v4, v5, vcc_lo
	v_cmp_gt_u32_e32 vcc_lo, 56, v3
	ds_bpermute_b32 v5, v7, v4
	v_cndmask_b32_e64 v7, 0, 8, vcc_lo
	v_cmp_lt_u32_e32 vcc_lo, v8, v6
	v_add_nc_u32_e32 v8, 8, v3
	s_delay_alu instid0(VALU_DEP_3) | instskip(SKIP_2) | instid1(VALU_DEP_1)
	v_add_lshl_u32 v7, v7, v3, 2
	s_wait_dscnt 0x0
	v_add_f32_e32 v5, v4, v5
	v_cndmask_b32_e32 v4, v4, v5, vcc_lo
	v_cmp_gt_u32_e32 vcc_lo, 48, v3
	ds_bpermute_b32 v5, v7, v4
	v_cndmask_b32_e64 v7, 0, 16, vcc_lo
	v_cmp_lt_u32_e32 vcc_lo, v8, v6
	s_delay_alu instid0(VALU_DEP_2) | instskip(SKIP_2) | instid1(VALU_DEP_1)
	v_add_lshl_u32 v7, v7, v3, 2
	s_wait_dscnt 0x0
	v_add_f32_e32 v5, v4, v5
	v_cndmask_b32_e32 v5, v4, v5, vcc_lo
	ds_bpermute_b32 v4, v7, v5
	v_add_nc_u32_e32 v7, 16, v3
	s_delay_alu instid0(VALU_DEP_1) | instskip(SKIP_2) | instid1(VALU_DEP_1)
	v_cmp_lt_u32_e32 vcc_lo, v7, v6
	s_wait_dscnt 0x0
	v_dual_add_f32 v8, v5, v4 :: v_dual_lshlrev_b32 v4, 2, v3
	v_dual_cndmask_b32 v5, v5, v8, vcc_lo :: v_dual_bitop2_b32 v8, 32, v3 bitop3:0x54
	ds_bpermute_b32 v7, v4, v5 offset:128
	v_cmp_lt_u32_e32 vcc_lo, v8, v6
	s_wait_dscnt 0x0
	v_add_f32_e32 v7, v5, v7
	s_delay_alu instid0(VALU_DEP_1)
	v_cndmask_b32_e32 v5, v5, v7, vcc_lo
	v_cmpx_eq_u32_e32 0, v3
; %bb.7:
	v_lshrrev_b32_e32 v6, 4, v0
	s_delay_alu instid0(VALU_DEP_1)
	v_and_b32_e32 v6, 60, v6
	ds_store_b32 v6, v5
; %bb.8:
	s_or_b32 exec_lo, exec_lo, s3
	s_delay_alu instid0(SALU_CYCLE_1)
	s_mov_b32 s14, exec_lo
	s_wait_dscnt 0x0
	s_barrier_signal -1
	s_barrier_wait -1
	v_cmpx_gt_u32_e32 16, v0
	s_cbranch_execz .LBB3_10
; %bb.9:
	ds_load_b32 v5, v4
	v_dual_add_nc_u32 v8, 63, v1 :: v_dual_bitop2_b32 v6, 15, v3 bitop3:0x40
	v_or_b32_e32 v4, 32, v4
	s_delay_alu instid0(VALU_DEP_2) | instskip(NEXT) | instid1(VALU_DEP_3)
	v_cmp_ne_u32_e32 vcc_lo, 15, v6
	v_dual_lshrrev_b32 v8, 6, v8 :: v_dual_add_nc_u32 v11, 2, v6
	v_cmp_gt_u32_e64 s3, 12, v6
	v_add_co_ci_u32_e64 v7, null, 0, v3, vcc_lo
	v_cmp_gt_u32_e32 vcc_lo, 14, v6
	s_delay_alu instid0(VALU_DEP_2)
	v_lshlrev_b32_e32 v7, 2, v7
	v_cndmask_b32_e64 v9, 0, 2, vcc_lo
	s_wait_dscnt 0x0
	ds_bpermute_b32 v7, v7, v5
	v_add_nc_u32_e32 v10, 1, v6
	v_add_lshl_u32 v9, v9, v3, 2
	s_wait_dscnt 0x0
	v_add_f32_e32 v7, v5, v7
	s_delay_alu instid0(VALU_DEP_3) | instskip(SKIP_2) | instid1(VALU_DEP_4)
	v_cmp_lt_u32_e32 vcc_lo, v10, v8
	v_cndmask_b32_e64 v10, 0, 4, s3
	v_cmp_lt_u32_e64 s3, v11, v8
	v_cndmask_b32_e32 v7, v5, v7, vcc_lo
	s_delay_alu instid0(VALU_DEP_3) | instskip(SKIP_3) | instid1(VALU_DEP_1)
	v_add_lshl_u32 v3, v10, v3, 2
	ds_bpermute_b32 v9, v9, v7
	s_wait_dscnt 0x0
	v_add_f32_e32 v9, v7, v9
	v_dual_cndmask_b32 v7, v7, v9, s3 :: v_dual_add_nc_u32 v9, 4, v6
	ds_bpermute_b32 v3, v3, v7
	v_cmp_lt_u32_e64 s3, v9, v8
	s_wait_dscnt 0x0
	v_add_f32_e32 v3, v7, v3
	s_delay_alu instid0(VALU_DEP_1) | instskip(SKIP_3) | instid1(VALU_DEP_1)
	v_cndmask_b32_e64 v3, v7, v3, s3
	ds_bpermute_b32 v4, v4, v3
	s_wait_dscnt 0x0
	v_dual_add_nc_u32 v6, 8, v6 :: v_dual_add_f32 v4, v3, v4
	v_cmp_lt_u32_e64 s3, v6, v8
	s_delay_alu instid0(VALU_DEP_1) | instskip(NEXT) | instid1(VALU_DEP_1)
	v_cndmask_b32_e64 v3, v3, v4, s3
	v_cndmask_b32_e32 v5, v5, v3, vcc_lo
.LBB3_10:
	s_or_b32 exec_lo, exec_lo, s14
	s_delay_alu instid0(SALU_CYCLE_1)
	s_mov_b32 s3, exec_lo
	v_cmpx_eq_u32_e32 0, v0
	s_cbranch_execz .LBB3_12
; %bb.11:
	s_cvt_f32_i32 s14, s12
	s_wait_xcnt 0x0
	s_load_b32 s0, s[0:1], 0x28
	s_delay_alu instid0(SALU_CYCLE_1) | instskip(SKIP_1) | instid1(VALU_DEP_2)
	v_div_scale_f32 v3, null, s14, s14, v5
	v_div_scale_f32 v7, vcc_lo, v5, s14, v5
	v_rcp_f32_e32 v4, v3
	v_nop
	s_delay_alu instid0(TRANS32_DEP_1) | instskip(NEXT) | instid1(VALU_DEP_1)
	v_fma_f32 v6, -v3, v4, 1.0
	v_fmac_f32_e32 v4, v6, v4
	s_delay_alu instid0(VALU_DEP_1) | instskip(NEXT) | instid1(VALU_DEP_1)
	v_mul_f32_e32 v6, v7, v4
	v_fma_f32 v8, -v3, v6, v7
	s_delay_alu instid0(VALU_DEP_1) | instskip(NEXT) | instid1(VALU_DEP_1)
	v_fmac_f32_e32 v6, v8, v4
	v_fma_f32 v3, -v3, v6, v7
	s_delay_alu instid0(VALU_DEP_1) | instskip(NEXT) | instid1(VALU_DEP_1)
	v_div_fmas_f32 v3, v3, v4, v6
	v_div_fixup_f32 v3, v3, s14, v5
	s_wait_kmcnt 0x0
	s_delay_alu instid0(VALU_DEP_1) | instskip(NEXT) | instid1(VALU_DEP_1)
	v_add_f32_e32 v3, s0, v3
	v_mul_f32_e32 v4, 0x4b800000, v3
	v_cmp_gt_f32_e32 vcc_lo, 0x800000, v3
	s_delay_alu instid0(VALU_DEP_2) | instskip(NEXT) | instid1(VALU_DEP_1)
	v_cndmask_b32_e32 v3, v3, v4, vcc_lo
	v_rsq_f32_e32 v3, v3
	v_nop
	s_delay_alu instid0(TRANS32_DEP_1) | instskip(NEXT) | instid1(VALU_DEP_1)
	v_mul_f32_e32 v4, 0x45800000, v3
	v_dual_cndmask_b32 v3, v3, v4 :: v_dual_mov_b32 v4, 0
	ds_store_b32 v4, v3 offset:64
.LBB3_12:
	s_or_b32 exec_lo, exec_lo, s3
	s_wait_dscnt 0x0
	s_barrier_signal -1
	s_barrier_wait -1
	s_wait_xcnt 0x0
	s_and_saveexec_b32 s0, s2
	s_cbranch_execz .LBB3_27
; %bb.13:
	s_wait_kmcnt 0x0
	s_load_b32 s0, s[6:7], 0x0
	v_mul_lo_u32 v7, s13, v2
	v_mul_lo_u32 v8, s12, v2
	s_mov_b32 s2, 0
	s_mov_b32 s3, 0x43600000
	s_wait_kmcnt 0x0
	v_div_scale_f32 v3, null, s0, s0, 1.0
	v_div_scale_f32 v9, vcc_lo, 1.0, s0, 1.0
	s_delay_alu instid0(VALU_DEP_2)
	v_rcp_f32_e32 v4, v3
	v_xor_b32_e32 v5, 0x80000000, v3
	s_delay_alu instid0(TRANS32_DEP_1) | instid1(VALU_DEP_1)
	v_fma_f32 v3, v5, v4, 1.0
	s_delay_alu instid0(VALU_DEP_1) | instskip(NEXT) | instid1(VALU_DEP_1)
	v_dual_fmac_f32 v4, v3, v4 :: v_dual_mov_b32 v3, 0
	v_mul_f32_e32 v10, v9, v4
	s_delay_alu instid0(VALU_DEP_1) | instskip(NEXT) | instid1(VALU_DEP_1)
	v_fma_f32 v6, v5, v10, v9
	v_fmac_f32_e32 v10, v6, v4
	ds_load_b32 v6, v3 offset:64
	v_fmac_f32_e32 v9, v5, v10
	s_delay_alu instid0(VALU_DEP_1) | instskip(NEXT) | instid1(VALU_DEP_1)
	v_div_fmas_f32 v2, v9, v4, v10
	v_div_fixup_f32 v9, v2, s0, 1.0
	s_branch .LBB3_16
.LBB3_14:                               ;   in Loop: Header=BB3_16 Depth=1
	s_or_b32 exec_lo, exec_lo, s0
.LBB3_15:                               ;   in Loop: Header=BB3_16 Depth=1
	s_delay_alu instid0(SALU_CYCLE_1)
	s_or_b32 exec_lo, exec_lo, s6
	v_add_nc_u32_e32 v4, v8, v0
	v_add_nc_u32_e32 v0, v0, v1
	global_store_b8 v4, v2, s[10:11]
	v_cmp_le_i32_e32 vcc_lo, s12, v0
	s_or_b32 s2, vcc_lo, s2
	s_wait_xcnt 0x0
	s_and_not1_b32 exec_lo, exec_lo, s2
	s_cbranch_execz .LBB3_27
.LBB3_16:                               ; =>This Inner Loop Header: Depth=1
	v_add_nc_u32_e32 v2, v7, v0
	global_load_u16 v4, v2, s[8:9] scale_offset
	global_load_u16 v5, v0, s[4:5] scale_offset
	s_wait_loadcnt_dscnt 0x100
	s_wait_xcnt 0x1
	v_fma_mixlo_f16 v2, v6, v4, 0 op_sel_hi:[0,1,0]
	s_wait_loadcnt 0x0
	s_delay_alu instid0(VALU_DEP_1) | instskip(NEXT) | instid1(VALU_DEP_1)
	v_mul_f16_e32 v2, v5, v2
	v_cvt_f32_f16_e32 v2, v2
	s_delay_alu instid0(VALU_DEP_1) | instskip(NEXT) | instid1(VALU_DEP_1)
	v_mul_f32_e32 v2, v9, v2
	v_minmax_num_f32 v10, v2, s3, 0xc3600000
	s_delay_alu instid0(VALU_DEP_1) | instskip(NEXT) | instid1(VALU_DEP_1)
	v_and_b32_e32 v2, 0x7f800000, v10
	v_cmp_ne_u64_e32 vcc_lo, 0x7f800000, v[2:3]
	v_mov_b32_e32 v2, 0x80
	s_wait_xcnt 0x0
	s_and_saveexec_b32 s6, vcc_lo
	s_cbranch_execz .LBB3_15
; %bb.17:                               ;   in Loop: Header=BB3_16 Depth=1
	v_and_b32_e32 v2, 0x7fffffff, v10
	s_delay_alu instid0(VALU_DEP_1) | instskip(SKIP_1) | instid1(SALU_CYCLE_1)
	v_cmp_gt_u64_e32 vcc_lo, 0x43700001, v[2:3]
                                        ; implicit-def: $vgpr2
	s_and_saveexec_b32 s0, vcc_lo
	s_xor_b32 s7, exec_lo, s0
	s_cbranch_execz .LBB3_25
; %bb.18:                               ;   in Loop: Header=BB3_16 Depth=1
	v_mov_b32_e32 v2, 0
	s_mov_b32 s13, exec_lo
	v_cmpx_ne_u32_e32 0, v10
	s_cbranch_execz .LBB3_24
; %bb.19:                               ;   in Loop: Header=BB3_16 Depth=1
	v_bfe_u32 v11, v10, 23, 8
	v_and_b32_e32 v4, 0x7fffff, v10
	s_delay_alu instid0(VALU_DEP_2) | instskip(SKIP_2) | instid1(VALU_DEP_3)
	v_sub_nc_u32_e64 v2, 0x78, v11 clamp
	v_cmp_eq_u32_e32 vcc_lo, 0, v11
	v_add_nc_u32_e32 v11, 0xffffff89, v11
	v_cndmask_b32_e64 v16, v2, 0x77, vcc_lo
	v_or_b32_e32 v2, 0x800000, v4
	s_delay_alu instid0(VALU_DEP_2) | instskip(NEXT) | instid1(VALU_DEP_2)
	v_dual_add_nc_u32 v5, 20, v16 :: v_dual_add_nc_u32 v12, 19, v16
	v_cndmask_b32_e32 v2, v2, v4, vcc_lo
	s_delay_alu instid0(VALU_DEP_2) | instskip(NEXT) | instid1(VALU_DEP_3)
	v_lshlrev_b64_e64 v[4:5], v5, -1
	v_lshlrev_b64_e64 v[12:13], v12, 1
	s_delay_alu instid0(VALU_DEP_3) | instskip(NEXT) | instid1(VALU_DEP_3)
	v_lshrrev_b64 v[14:15], v16, v[2:3]
	v_bfi_b32 v5, v5, 0, 0
	s_delay_alu instid0(VALU_DEP_4) | instskip(NEXT) | instid1(VALU_DEP_3)
	v_bfi_b32 v4, v4, 0, v2
	v_and_b32_e32 v2, 0x100000, v14
	s_delay_alu instid0(VALU_DEP_2) | instskip(NEXT) | instid1(VALU_DEP_2)
	v_cmp_eq_u64_e64 s0, v[4:5], v[12:13]
	v_cmp_eq_u64_e64 s1, 0, v[2:3]
	v_cndmask_b32_e64 v2, v11, 0xffffff8a, vcc_lo
	v_lshrrev_b32_e32 v4, 23, v14
                                        ; implicit-def: $vgpr11
	s_delay_alu instid0(VALU_DEP_1) | instskip(SKIP_3) | instid1(VALU_DEP_2)
	v_add3_u32 v12, v2, v16, v4
	s_and_b32 vcc_lo, s1, s0
	s_mov_b32 s0, exec_lo
	v_subrev_co_ci_u32_e64 v5, null, 0, v14, vcc_lo
	v_add_nc_u32_e32 v13, -1, v12
	s_delay_alu instid0(VALU_DEP_2) | instskip(NEXT) | instid1(VALU_DEP_1)
	v_and_b32_e32 v2, 0xfffff, v5
                                        ; implicit-def: $vgpr4_vgpr5
	v_add_nc_u32_e32 v2, v2, v14
	s_delay_alu instid0(VALU_DEP_3)
	v_cmpx_ne_u32_e32 0, v13
	s_xor_b32 s0, exec_lo, s0
	s_cbranch_execz .LBB3_21
; %bb.20:                               ;   in Loop: Header=BB3_16 Depth=1
	s_delay_alu instid0(VALU_DEP_2) | instskip(SKIP_2) | instid1(VALU_DEP_2)
	v_and_b32_e32 v14, 0x1000000, v2
	v_mov_b32_e32 v15, v3
	v_bfe_u32 v4, v2, 24, 1
	v_cmp_eq_u64_e32 vcc_lo, 0, v[14:15]
	s_delay_alu instid0(VALU_DEP_2)
	v_lshrrev_b64 v[4:5], v4, v[2:3]
	v_cndmask_b32_e32 v11, v12, v13, vcc_lo
.LBB3_21:                               ;   in Loop: Header=BB3_16 Depth=1
	s_and_not1_saveexec_b32 s0, s0
; %bb.22:                               ;   in Loop: Header=BB3_16 Depth=1
	v_mov_b64_e32 v[4:5], v[2:3]
	v_bfe_u32 v11, v2, 23, 1
; %bb.23:                               ;   in Loop: Header=BB3_16 Depth=1
	s_or_b32 exec_lo, exec_lo, s0
	s_delay_alu instid0(VALU_DEP_2) | instskip(NEXT) | instid1(VALU_DEP_2)
	v_lshrrev_b64 v[4:5], 20, v[4:5]
	v_dual_lshrrev_b32 v2, 24, v10 :: v_dual_min_i32 v10, 15, v11
	v_cmp_gt_i32_e32 vcc_lo, 16, v11
	v_cmp_eq_u32_e64 s0, 0, v11
	s_delay_alu instid0(VALU_DEP_3) | instskip(SKIP_1) | instid1(VALU_DEP_2)
	v_and_b32_e32 v2, 0x80, v2
	v_dual_cndmask_b32 v5, 0, v5 :: v_dual_cndmask_b32 v4, 7, v4
	v_lshl_or_b32 v2, v10, 3, v2
	s_delay_alu instid0(VALU_DEP_2) | instskip(NEXT) | instid1(VALU_DEP_2)
	v_cmp_eq_u64_e32 vcc_lo, 0, v[4:5]
	v_and_or_b32 v2, v4, 7, v2
	s_and_b32 s0, s0, vcc_lo
	s_delay_alu instid0(VALU_DEP_1) | instid1(SALU_CYCLE_1)
	v_cndmask_b32_e64 v2, v2, 0, s0
.LBB3_24:                               ;   in Loop: Header=BB3_16 Depth=1
	s_or_b32 exec_lo, exec_lo, s13
                                        ; implicit-def: $vgpr10
.LBB3_25:                               ;   in Loop: Header=BB3_16 Depth=1
	s_and_not1_saveexec_b32 s0, s7
	s_cbranch_execz .LBB3_14
; %bb.26:                               ;   in Loop: Header=BB3_16 Depth=1
	v_lshrrev_b32_e32 v2, 24, v10
	s_delay_alu instid0(VALU_DEP_1)
	v_or_b32_e32 v2, 0x7f, v2
	s_branch .LBB3_14
.LBB3_27:
	s_endpgm
	.section	.rodata,"a",@progbits
	.p2align	6, 0x0
	.amdhsa_kernel _ZN4vllm32rms_norm_static_fp8_quant_kernelIN3c104HalfENS1_15Float8_e4m3fnuzEEEvPT0_PKT_iS8_PKffii
		.amdhsa_group_segment_fixed_size 68
		.amdhsa_private_segment_fixed_size 0
		.amdhsa_kernarg_size 312
		.amdhsa_user_sgpr_count 2
		.amdhsa_user_sgpr_dispatch_ptr 0
		.amdhsa_user_sgpr_queue_ptr 0
		.amdhsa_user_sgpr_kernarg_segment_ptr 1
		.amdhsa_user_sgpr_dispatch_id 0
		.amdhsa_user_sgpr_kernarg_preload_length 0
		.amdhsa_user_sgpr_kernarg_preload_offset 0
		.amdhsa_user_sgpr_private_segment_size 0
		.amdhsa_wavefront_size32 1
		.amdhsa_uses_dynamic_stack 0
		.amdhsa_enable_private_segment 0
		.amdhsa_system_sgpr_workgroup_id_x 1
		.amdhsa_system_sgpr_workgroup_id_y 0
		.amdhsa_system_sgpr_workgroup_id_z 0
		.amdhsa_system_sgpr_workgroup_info 0
		.amdhsa_system_vgpr_workitem_id 0
		.amdhsa_next_free_vgpr 17
		.amdhsa_next_free_sgpr 18
		.amdhsa_named_barrier_count 0
		.amdhsa_reserve_vcc 1
		.amdhsa_float_round_mode_32 0
		.amdhsa_float_round_mode_16_64 0
		.amdhsa_float_denorm_mode_32 3
		.amdhsa_float_denorm_mode_16_64 3
		.amdhsa_fp16_overflow 0
		.amdhsa_memory_ordered 1
		.amdhsa_forward_progress 1
		.amdhsa_inst_pref_size 16
		.amdhsa_round_robin_scheduling 0
		.amdhsa_exception_fp_ieee_invalid_op 0
		.amdhsa_exception_fp_denorm_src 0
		.amdhsa_exception_fp_ieee_div_zero 0
		.amdhsa_exception_fp_ieee_overflow 0
		.amdhsa_exception_fp_ieee_underflow 0
		.amdhsa_exception_fp_ieee_inexact 0
		.amdhsa_exception_int_div_zero 0
	.end_amdhsa_kernel
	.section	.text._ZN4vllm32rms_norm_static_fp8_quant_kernelIN3c104HalfENS1_15Float8_e4m3fnuzEEEvPT0_PKT_iS8_PKffii,"axG",@progbits,_ZN4vllm32rms_norm_static_fp8_quant_kernelIN3c104HalfENS1_15Float8_e4m3fnuzEEEvPT0_PKT_iS8_PKffii,comdat
.Lfunc_end3:
	.size	_ZN4vllm32rms_norm_static_fp8_quant_kernelIN3c104HalfENS1_15Float8_e4m3fnuzEEEvPT0_PKT_iS8_PKffii, .Lfunc_end3-_ZN4vllm32rms_norm_static_fp8_quant_kernelIN3c104HalfENS1_15Float8_e4m3fnuzEEEvPT0_PKT_iS8_PKffii
                                        ; -- End function
	.set _ZN4vllm32rms_norm_static_fp8_quant_kernelIN3c104HalfENS1_15Float8_e4m3fnuzEEEvPT0_PKT_iS8_PKffii.num_vgpr, 17
	.set _ZN4vllm32rms_norm_static_fp8_quant_kernelIN3c104HalfENS1_15Float8_e4m3fnuzEEEvPT0_PKT_iS8_PKffii.num_agpr, 0
	.set _ZN4vllm32rms_norm_static_fp8_quant_kernelIN3c104HalfENS1_15Float8_e4m3fnuzEEEvPT0_PKT_iS8_PKffii.numbered_sgpr, 18
	.set _ZN4vllm32rms_norm_static_fp8_quant_kernelIN3c104HalfENS1_15Float8_e4m3fnuzEEEvPT0_PKT_iS8_PKffii.num_named_barrier, 0
	.set _ZN4vllm32rms_norm_static_fp8_quant_kernelIN3c104HalfENS1_15Float8_e4m3fnuzEEEvPT0_PKT_iS8_PKffii.private_seg_size, 0
	.set _ZN4vllm32rms_norm_static_fp8_quant_kernelIN3c104HalfENS1_15Float8_e4m3fnuzEEEvPT0_PKT_iS8_PKffii.uses_vcc, 1
	.set _ZN4vllm32rms_norm_static_fp8_quant_kernelIN3c104HalfENS1_15Float8_e4m3fnuzEEEvPT0_PKT_iS8_PKffii.uses_flat_scratch, 0
	.set _ZN4vllm32rms_norm_static_fp8_quant_kernelIN3c104HalfENS1_15Float8_e4m3fnuzEEEvPT0_PKT_iS8_PKffii.has_dyn_sized_stack, 0
	.set _ZN4vllm32rms_norm_static_fp8_quant_kernelIN3c104HalfENS1_15Float8_e4m3fnuzEEEvPT0_PKT_iS8_PKffii.has_recursion, 0
	.set _ZN4vllm32rms_norm_static_fp8_quant_kernelIN3c104HalfENS1_15Float8_e4m3fnuzEEEvPT0_PKT_iS8_PKffii.has_indirect_call, 0
	.section	.AMDGPU.csdata,"",@progbits
; Kernel info:
; codeLenInByte = 2016
; TotalNumSgprs: 20
; NumVgprs: 17
; ScratchSize: 0
; MemoryBound: 0
; FloatMode: 240
; IeeeMode: 1
; LDSByteSize: 68 bytes/workgroup (compile time only)
; SGPRBlocks: 0
; VGPRBlocks: 1
; NumSGPRsForWavesPerEU: 20
; NumVGPRsForWavesPerEU: 17
; NamedBarCnt: 0
; Occupancy: 16
; WaveLimiterHint : 0
; COMPUTE_PGM_RSRC2:SCRATCH_EN: 0
; COMPUTE_PGM_RSRC2:USER_SGPR: 2
; COMPUTE_PGM_RSRC2:TRAP_HANDLER: 0
; COMPUTE_PGM_RSRC2:TGID_X_EN: 1
; COMPUTE_PGM_RSRC2:TGID_Y_EN: 0
; COMPUTE_PGM_RSRC2:TGID_Z_EN: 0
; COMPUTE_PGM_RSRC2:TIDIG_COMP_CNT: 0
	.section	.text._ZN4vllm32rms_norm_static_fp8_quant_kernelIN3c108BFloat16ENS1_13Float8_e4m3fnEEEvPT0_PKT_iS8_PKffii,"axG",@progbits,_ZN4vllm32rms_norm_static_fp8_quant_kernelIN3c108BFloat16ENS1_13Float8_e4m3fnEEEvPT0_PKT_iS8_PKffii,comdat
	.protected	_ZN4vllm32rms_norm_static_fp8_quant_kernelIN3c108BFloat16ENS1_13Float8_e4m3fnEEEvPT0_PKT_iS8_PKffii ; -- Begin function _ZN4vllm32rms_norm_static_fp8_quant_kernelIN3c108BFloat16ENS1_13Float8_e4m3fnEEEvPT0_PKT_iS8_PKffii
	.globl	_ZN4vllm32rms_norm_static_fp8_quant_kernelIN3c108BFloat16ENS1_13Float8_e4m3fnEEEvPT0_PKT_iS8_PKffii
	.p2align	8
	.type	_ZN4vllm32rms_norm_static_fp8_quant_kernelIN3c108BFloat16ENS1_13Float8_e4m3fnEEEvPT0_PKT_iS8_PKffii,@function
_ZN4vllm32rms_norm_static_fp8_quant_kernelIN3c108BFloat16ENS1_13Float8_e4m3fnEEEvPT0_PKT_iS8_PKffii: ; @_ZN4vllm32rms_norm_static_fp8_quant_kernelIN3c108BFloat16ENS1_13Float8_e4m3fnEEEvPT0_PKT_iS8_PKffii
; %bb.0:
	s_clause 0x1
	s_load_b32 s12, s[0:1], 0x30
	s_load_b64 s[8:9], s[0:1], 0x8
	s_getreg_b32 s14, hwreg(HW_REG_IB_STS2, 6, 4)
	s_mov_b32 s3, exec_lo
                                        ; implicit-def: $sgpr15
                                        ; implicit-def: $sgpr16
	s_wait_kmcnt 0x0
	v_cmp_gt_i32_e64 s2, s12, v0
	v_cmpx_le_i32_e64 s12, v0
	s_xor_b32 s3, exec_lo, s3
	s_cbranch_execz .LBB4_2
; %bb.1:
	s_load_b32 s4, s[0:1], 0x44
	s_bfe_u32 s5, ttmp6, 0x4000c
	s_and_b32 s6, ttmp6, 15
	s_add_co_i32 s5, s5, 1
	s_delay_alu instid0(SALU_CYCLE_1) | instskip(NEXT) | instid1(SALU_CYCLE_1)
	s_mul_i32 s5, ttmp9, s5
	s_add_co_i32 s6, s6, s5
	s_cmp_eq_u32 s14, 0
	s_cselect_b32 s15, ttmp9, s6
	s_wait_kmcnt 0x0
	s_and_b32 s16, s4, 0xffff
.LBB4_2:
	s_or_saveexec_b32 s3, s3
	s_clause 0x2
	s_load_b128 s[4:7], s[0:1], 0x18
	s_load_b64 s[10:11], s[0:1], 0x0
	s_load_b32 s13, s[0:1], 0x10
	v_dual_mov_b32 v4, 0 :: v_dual_mov_b32 v2, s15
	v_mov_b32_e32 v1, s16
	s_xor_b32 exec_lo, exec_lo, s3
	s_cbranch_execz .LBB4_6
; %bb.3:
	s_load_b32 s15, s[0:1], 0x44
	s_bfe_u32 s16, ttmp6, 0x4000c
	s_and_b32 s17, ttmp6, 15
	s_add_co_i32 s16, s16, 1
	v_dual_mov_b32 v4, 0 :: v_dual_mov_b32 v1, v0
	s_mul_i32 s16, ttmp9, s16
	s_delay_alu instid0(SALU_CYCLE_1)
	s_add_co_i32 s17, s17, s16
	s_cmp_eq_u32 s14, 0
	s_mov_b32 s16, 0
	s_cselect_b32 s14, ttmp9, s17
	s_wait_kmcnt 0x0
	s_mul_i32 s17, s13, s14
	s_and_b32 s15, s15, 0xffff
.LBB4_4:                                ; =>This Inner Loop Header: Depth=1
	s_delay_alu instid0(SALU_CYCLE_1)
	v_dual_add_nc_u32 v2, s17, v1 :: v_dual_add_nc_u32 v1, s15, v1
	global_load_u16 v2, v2, s[8:9] scale_offset
	v_cmp_le_i32_e32 vcc_lo, s12, v1
	s_or_b32 s16, vcc_lo, s16
	s_wait_loadcnt 0x0
	v_fma_mix_f32_bf16 v4, v2, v2, v4 op_sel_hi:[1,1,0]
	s_and_not1_b32 exec_lo, exec_lo, s16
	s_cbranch_execnz .LBB4_4
; %bb.5:
	s_or_b32 exec_lo, exec_lo, s16
	v_dual_mov_b32 v2, s14 :: v_dual_mov_b32 v1, s15
.LBB4_6:
	s_or_b32 exec_lo, exec_lo, s3
	v_mbcnt_lo_u32_b32 v3, -1, 0
	v_and_b32_e32 v6, 0x3c0, v0
	s_mov_b32 s3, exec_lo
	s_delay_alu instid0(VALU_DEP_2) | instskip(NEXT) | instid1(VALU_DEP_2)
	v_cmp_ne_u32_e32 vcc_lo, 63, v3
	v_sub_nc_u32_e64 v6, v1, v6 clamp
	v_add_nc_u32_e32 v8, 1, v3
	v_add_co_ci_u32_e64 v5, null, 0, v3, vcc_lo
	v_cmp_gt_u32_e32 vcc_lo, 62, v3
	s_delay_alu instid0(VALU_DEP_2)
	v_lshlrev_b32_e32 v5, 2, v5
	v_cndmask_b32_e64 v7, 0, 2, vcc_lo
	v_cmp_lt_u32_e32 vcc_lo, v8, v6
	v_add_nc_u32_e32 v8, 2, v3
	ds_bpermute_b32 v5, v5, v4
	v_add_lshl_u32 v7, v7, v3, 2
	s_wait_dscnt 0x0
	v_add_f32_e32 v5, v4, v5
	s_delay_alu instid0(VALU_DEP_1)
	v_cndmask_b32_e32 v4, v4, v5, vcc_lo
	v_cmp_gt_u32_e32 vcc_lo, 60, v3
	ds_bpermute_b32 v5, v7, v4
	v_cndmask_b32_e64 v7, 0, 4, vcc_lo
	v_cmp_lt_u32_e32 vcc_lo, v8, v6
	v_add_nc_u32_e32 v8, 4, v3
	s_delay_alu instid0(VALU_DEP_3) | instskip(SKIP_2) | instid1(VALU_DEP_1)
	v_add_lshl_u32 v7, v7, v3, 2
	s_wait_dscnt 0x0
	v_add_f32_e32 v5, v4, v5
	v_cndmask_b32_e32 v4, v4, v5, vcc_lo
	v_cmp_gt_u32_e32 vcc_lo, 56, v3
	ds_bpermute_b32 v5, v7, v4
	v_cndmask_b32_e64 v7, 0, 8, vcc_lo
	v_cmp_lt_u32_e32 vcc_lo, v8, v6
	v_add_nc_u32_e32 v8, 8, v3
	s_delay_alu instid0(VALU_DEP_3) | instskip(SKIP_2) | instid1(VALU_DEP_1)
	v_add_lshl_u32 v7, v7, v3, 2
	s_wait_dscnt 0x0
	v_add_f32_e32 v5, v4, v5
	v_cndmask_b32_e32 v4, v4, v5, vcc_lo
	v_cmp_gt_u32_e32 vcc_lo, 48, v3
	ds_bpermute_b32 v5, v7, v4
	v_cndmask_b32_e64 v7, 0, 16, vcc_lo
	v_cmp_lt_u32_e32 vcc_lo, v8, v6
	s_delay_alu instid0(VALU_DEP_2) | instskip(SKIP_2) | instid1(VALU_DEP_1)
	v_add_lshl_u32 v7, v7, v3, 2
	s_wait_dscnt 0x0
	v_add_f32_e32 v5, v4, v5
	v_cndmask_b32_e32 v5, v4, v5, vcc_lo
	ds_bpermute_b32 v4, v7, v5
	v_add_nc_u32_e32 v7, 16, v3
	s_delay_alu instid0(VALU_DEP_1) | instskip(SKIP_2) | instid1(VALU_DEP_1)
	v_cmp_lt_u32_e32 vcc_lo, v7, v6
	s_wait_dscnt 0x0
	v_dual_add_f32 v8, v5, v4 :: v_dual_lshlrev_b32 v4, 2, v3
	v_dual_cndmask_b32 v5, v5, v8, vcc_lo :: v_dual_bitop2_b32 v8, 32, v3 bitop3:0x54
	ds_bpermute_b32 v7, v4, v5 offset:128
	v_cmp_lt_u32_e32 vcc_lo, v8, v6
	s_wait_dscnt 0x0
	v_add_f32_e32 v7, v5, v7
	s_delay_alu instid0(VALU_DEP_1)
	v_cndmask_b32_e32 v5, v5, v7, vcc_lo
	v_cmpx_eq_u32_e32 0, v3
; %bb.7:
	v_lshrrev_b32_e32 v6, 4, v0
	s_delay_alu instid0(VALU_DEP_1)
	v_and_b32_e32 v6, 60, v6
	ds_store_b32 v6, v5
; %bb.8:
	s_or_b32 exec_lo, exec_lo, s3
	s_delay_alu instid0(SALU_CYCLE_1)
	s_mov_b32 s14, exec_lo
	s_wait_dscnt 0x0
	s_barrier_signal -1
	s_barrier_wait -1
	v_cmpx_gt_u32_e32 16, v0
	s_cbranch_execz .LBB4_10
; %bb.9:
	ds_load_b32 v5, v4
	v_dual_add_nc_u32 v8, 63, v1 :: v_dual_bitop2_b32 v6, 15, v3 bitop3:0x40
	v_or_b32_e32 v4, 32, v4
	s_delay_alu instid0(VALU_DEP_2) | instskip(NEXT) | instid1(VALU_DEP_3)
	v_cmp_ne_u32_e32 vcc_lo, 15, v6
	v_dual_lshrrev_b32 v8, 6, v8 :: v_dual_add_nc_u32 v11, 2, v6
	v_cmp_gt_u32_e64 s3, 12, v6
	v_add_co_ci_u32_e64 v7, null, 0, v3, vcc_lo
	v_cmp_gt_u32_e32 vcc_lo, 14, v6
	s_delay_alu instid0(VALU_DEP_2)
	v_lshlrev_b32_e32 v7, 2, v7
	v_cndmask_b32_e64 v9, 0, 2, vcc_lo
	s_wait_dscnt 0x0
	ds_bpermute_b32 v7, v7, v5
	v_add_nc_u32_e32 v10, 1, v6
	v_add_lshl_u32 v9, v9, v3, 2
	s_wait_dscnt 0x0
	v_add_f32_e32 v7, v5, v7
	s_delay_alu instid0(VALU_DEP_3) | instskip(SKIP_2) | instid1(VALU_DEP_4)
	v_cmp_lt_u32_e32 vcc_lo, v10, v8
	v_cndmask_b32_e64 v10, 0, 4, s3
	v_cmp_lt_u32_e64 s3, v11, v8
	v_cndmask_b32_e32 v7, v5, v7, vcc_lo
	s_delay_alu instid0(VALU_DEP_3) | instskip(SKIP_3) | instid1(VALU_DEP_1)
	v_add_lshl_u32 v3, v10, v3, 2
	ds_bpermute_b32 v9, v9, v7
	s_wait_dscnt 0x0
	v_add_f32_e32 v9, v7, v9
	v_dual_cndmask_b32 v7, v7, v9, s3 :: v_dual_add_nc_u32 v9, 4, v6
	ds_bpermute_b32 v3, v3, v7
	v_cmp_lt_u32_e64 s3, v9, v8
	s_wait_dscnt 0x0
	v_add_f32_e32 v3, v7, v3
	s_delay_alu instid0(VALU_DEP_1) | instskip(SKIP_3) | instid1(VALU_DEP_1)
	v_cndmask_b32_e64 v3, v7, v3, s3
	ds_bpermute_b32 v4, v4, v3
	s_wait_dscnt 0x0
	v_dual_add_nc_u32 v6, 8, v6 :: v_dual_add_f32 v4, v3, v4
	v_cmp_lt_u32_e64 s3, v6, v8
	s_delay_alu instid0(VALU_DEP_1) | instskip(NEXT) | instid1(VALU_DEP_1)
	v_cndmask_b32_e64 v3, v3, v4, s3
	v_cndmask_b32_e32 v5, v5, v3, vcc_lo
.LBB4_10:
	s_or_b32 exec_lo, exec_lo, s14
	s_delay_alu instid0(SALU_CYCLE_1)
	s_mov_b32 s3, exec_lo
	v_cmpx_eq_u32_e32 0, v0
	s_cbranch_execz .LBB4_12
; %bb.11:
	s_cvt_f32_i32 s14, s12
	s_wait_xcnt 0x0
	s_load_b32 s0, s[0:1], 0x28
	s_delay_alu instid0(SALU_CYCLE_1) | instskip(SKIP_1) | instid1(VALU_DEP_2)
	v_div_scale_f32 v3, null, s14, s14, v5
	v_div_scale_f32 v7, vcc_lo, v5, s14, v5
	v_rcp_f32_e32 v4, v3
	v_nop
	s_delay_alu instid0(TRANS32_DEP_1) | instskip(NEXT) | instid1(VALU_DEP_1)
	v_fma_f32 v6, -v3, v4, 1.0
	v_fmac_f32_e32 v4, v6, v4
	s_delay_alu instid0(VALU_DEP_1) | instskip(NEXT) | instid1(VALU_DEP_1)
	v_mul_f32_e32 v6, v7, v4
	v_fma_f32 v8, -v3, v6, v7
	s_delay_alu instid0(VALU_DEP_1) | instskip(NEXT) | instid1(VALU_DEP_1)
	v_fmac_f32_e32 v6, v8, v4
	v_fma_f32 v3, -v3, v6, v7
	s_delay_alu instid0(VALU_DEP_1) | instskip(NEXT) | instid1(VALU_DEP_1)
	v_div_fmas_f32 v3, v3, v4, v6
	v_div_fixup_f32 v3, v3, s14, v5
	s_wait_kmcnt 0x0
	s_delay_alu instid0(VALU_DEP_1) | instskip(NEXT) | instid1(VALU_DEP_1)
	v_add_f32_e32 v3, s0, v3
	v_mul_f32_e32 v4, 0x4b800000, v3
	v_cmp_gt_f32_e32 vcc_lo, 0x800000, v3
	s_delay_alu instid0(VALU_DEP_2) | instskip(NEXT) | instid1(VALU_DEP_1)
	v_cndmask_b32_e32 v3, v3, v4, vcc_lo
	v_rsq_f32_e32 v3, v3
	v_nop
	s_delay_alu instid0(TRANS32_DEP_1) | instskip(NEXT) | instid1(VALU_DEP_1)
	v_mul_f32_e32 v4, 0x45800000, v3
	v_dual_cndmask_b32 v3, v3, v4 :: v_dual_mov_b32 v4, 0
	ds_store_b32 v4, v3 offset:64
.LBB4_12:
	s_or_b32 exec_lo, exec_lo, s3
	s_wait_dscnt 0x0
	s_barrier_signal -1
	s_barrier_wait -1
	s_wait_xcnt 0x0
	s_and_saveexec_b32 s0, s2
	s_cbranch_execz .LBB4_33
; %bb.13:
	s_wait_kmcnt 0x0
	s_load_b32 s0, s[6:7], 0x0
	v_mul_lo_u32 v7, s13, v2
	v_mul_lo_u32 v8, s12, v2
	s_mov_b32 s2, 0
	s_mov_b32 s3, 0x43e00000
	s_wait_kmcnt 0x0
	v_div_scale_f32 v3, null, s0, s0, 1.0
	v_div_scale_f32 v9, vcc_lo, 1.0, s0, 1.0
	s_delay_alu instid0(VALU_DEP_2)
	v_rcp_f32_e32 v4, v3
	v_xor_b32_e32 v5, 0x80000000, v3
	s_delay_alu instid0(TRANS32_DEP_1) | instid1(VALU_DEP_1)
	v_fma_f32 v3, v5, v4, 1.0
	s_delay_alu instid0(VALU_DEP_1) | instskip(NEXT) | instid1(VALU_DEP_1)
	v_dual_fmac_f32 v4, v3, v4 :: v_dual_mov_b32 v3, 0
	v_mul_f32_e32 v10, v9, v4
	s_delay_alu instid0(VALU_DEP_1) | instskip(NEXT) | instid1(VALU_DEP_1)
	v_fma_f32 v6, v5, v10, v9
	v_fmac_f32_e32 v10, v6, v4
	ds_load_b32 v6, v3 offset:64
	v_fmac_f32_e32 v9, v5, v10
	s_delay_alu instid0(VALU_DEP_1) | instskip(NEXT) | instid1(VALU_DEP_1)
	v_div_fmas_f32 v2, v9, v4, v10
	v_div_fixup_f32 v9, v2, s0, 1.0
	s_branch .LBB4_15
.LBB4_14:                               ;   in Loop: Header=BB4_15 Depth=1
	s_or_b32 exec_lo, exec_lo, s0
	v_add_nc_u32_e32 v4, v8, v0
	v_add_nc_u32_e32 v0, v0, v1
	global_store_b8 v4, v2, s[10:11]
	v_cmp_le_i32_e32 vcc_lo, s12, v0
	s_or_b32 s2, vcc_lo, s2
	s_wait_xcnt 0x0
	s_and_not1_b32 exec_lo, exec_lo, s2
	s_cbranch_execz .LBB4_33
.LBB4_15:                               ; =>This Inner Loop Header: Depth=1
	v_add_nc_u32_e32 v2, v7, v0
	global_load_u16 v4, v2, s[8:9] scale_offset
	global_load_u16 v5, v0, s[4:5] scale_offset
	s_wait_loadcnt 0x1
	s_wait_xcnt 0x1
	v_lshlrev_b32_e32 v2, 16, v4
	s_wait_dscnt 0x0
	s_delay_alu instid0(VALU_DEP_1) | instskip(NEXT) | instid1(VALU_DEP_1)
	v_mul_f32_e32 v2, v6, v2
	v_bfe_u32 v4, v2, 16, 1
	v_cmp_o_f32_e32 vcc_lo, v2, v2
	s_delay_alu instid0(VALU_DEP_2) | instskip(NEXT) | instid1(VALU_DEP_1)
	v_add3_u32 v4, v2, v4, 0x7fff
	v_and_b32_e32 v4, 0xffff0000, v4
	s_delay_alu instid0(VALU_DEP_1) | instskip(SKIP_2) | instid1(VALU_DEP_1)
	v_cndmask_b32_e32 v2, 0x7fc00000, v4, vcc_lo
	s_wait_loadcnt 0x0
	v_lshlrev_b32_e32 v4, 16, v5
	v_mul_f32_e32 v2, v2, v4
	s_delay_alu instid0(VALU_DEP_1) | instskip(SKIP_1) | instid1(VALU_DEP_2)
	v_bfe_u32 v4, v2, 16, 1
	v_cmp_o_f32_e32 vcc_lo, v2, v2
	v_add3_u32 v4, v2, v4, 0x7fff
	s_delay_alu instid0(VALU_DEP_1) | instskip(NEXT) | instid1(VALU_DEP_1)
	v_and_b32_e32 v4, 0xffff0000, v4
	v_cndmask_b32_e32 v2, 0x7fc00000, v4, vcc_lo
	s_delay_alu instid0(VALU_DEP_1) | instskip(NEXT) | instid1(VALU_DEP_1)
	v_mul_f32_e32 v2, v9, v2
	v_minmax_num_f32 v4, v2, s3, 0xc3e00000
	s_delay_alu instid0(VALU_DEP_1) | instskip(SKIP_1) | instid1(VALU_DEP_2)
	v_and_b32_e32 v2, 0x7f800000, v4
	v_lshrrev_b32_e32 v5, 24, v4
	v_cmp_ne_u64_e32 vcc_lo, 0x7f800000, v[2:3]
                                        ; implicit-def: $vgpr2
	s_wait_xcnt 0x0
	s_and_saveexec_b32 s0, vcc_lo
	s_delay_alu instid0(SALU_CYCLE_1)
	s_xor_b32 s6, exec_lo, s0
	s_cbranch_execz .LBB4_31
; %bb.16:                               ;   in Loop: Header=BB4_15 Depth=1
	v_and_b32_e32 v2, 0x7fffffff, v4
	v_and_b32_e32 v10, 0x80, v5
	s_delay_alu instid0(VALU_DEP_2) | instskip(SKIP_1) | instid1(SALU_CYCLE_1)
	v_cmp_gt_u64_e32 vcc_lo, 0x43e00001, v[2:3]
                                        ; implicit-def: $vgpr2
	s_and_saveexec_b32 s0, vcc_lo
	s_xor_b32 s7, exec_lo, s0
	s_cbranch_execz .LBB4_28
; %bb.17:                               ;   in Loop: Header=BB4_15 Depth=1
	v_mov_b32_e32 v2, 0
	s_mov_b32 s13, exec_lo
	v_cmpx_ne_u32_e32 0, v4
	s_cbranch_execz .LBB4_27
; %bb.18:                               ;   in Loop: Header=BB4_15 Depth=1
	v_bfe_u32 v11, v4, 23, 8
	v_and_b32_e32 v4, 0x7fffff, v4
	s_delay_alu instid0(VALU_DEP_2) | instskip(SKIP_2) | instid1(VALU_DEP_3)
	v_sub_nc_u32_e64 v2, 0x79, v11 clamp
	v_cmp_eq_u32_e32 vcc_lo, 0, v11
	v_add_nc_u32_e32 v11, 0xffffff88, v11
	v_cndmask_b32_e64 v16, v2, 0x78, vcc_lo
	v_or_b32_e32 v2, 0x800000, v4
	s_delay_alu instid0(VALU_DEP_2) | instskip(NEXT) | instid1(VALU_DEP_2)
	v_dual_add_nc_u32 v5, 20, v16 :: v_dual_add_nc_u32 v12, 19, v16
	v_cndmask_b32_e32 v2, v2, v4, vcc_lo
	s_delay_alu instid0(VALU_DEP_2) | instskip(NEXT) | instid1(VALU_DEP_3)
	v_lshlrev_b64_e64 v[4:5], v5, -1
	v_lshlrev_b64_e64 v[12:13], v12, 1
	s_delay_alu instid0(VALU_DEP_3) | instskip(NEXT) | instid1(VALU_DEP_3)
	v_lshrrev_b64 v[14:15], v16, v[2:3]
	v_bfi_b32 v5, v5, 0, 0
	s_delay_alu instid0(VALU_DEP_4) | instskip(NEXT) | instid1(VALU_DEP_3)
	v_bfi_b32 v4, v4, 0, v2
	v_and_b32_e32 v2, 0x100000, v14
	s_delay_alu instid0(VALU_DEP_2) | instskip(NEXT) | instid1(VALU_DEP_2)
	v_cmp_eq_u64_e64 s0, v[4:5], v[12:13]
	v_cmp_eq_u64_e64 s1, 0, v[2:3]
	v_cndmask_b32_e64 v2, v11, 0xffffff89, vcc_lo
	v_lshrrev_b32_e32 v4, 23, v14
                                        ; implicit-def: $vgpr11
	s_delay_alu instid0(VALU_DEP_1) | instskip(SKIP_3) | instid1(VALU_DEP_2)
	v_add3_u32 v12, v2, v16, v4
	s_and_b32 vcc_lo, s1, s0
	s_mov_b32 s0, exec_lo
	v_subrev_co_ci_u32_e64 v5, null, 0, v14, vcc_lo
	v_add_nc_u32_e32 v13, -1, v12
	s_delay_alu instid0(VALU_DEP_2) | instskip(NEXT) | instid1(VALU_DEP_1)
	v_and_b32_e32 v2, 0xfffff, v5
                                        ; implicit-def: $vgpr4_vgpr5
	v_add_nc_u32_e32 v2, v2, v14
	s_delay_alu instid0(VALU_DEP_3)
	v_cmpx_ne_u32_e32 0, v13
	s_xor_b32 s0, exec_lo, s0
	s_cbranch_execz .LBB4_20
; %bb.19:                               ;   in Loop: Header=BB4_15 Depth=1
	s_delay_alu instid0(VALU_DEP_2) | instskip(SKIP_2) | instid1(VALU_DEP_2)
	v_and_b32_e32 v14, 0x1000000, v2
	v_mov_b32_e32 v15, v3
	v_bfe_u32 v4, v2, 24, 1
	v_cmp_eq_u64_e32 vcc_lo, 0, v[14:15]
	s_delay_alu instid0(VALU_DEP_2)
	v_lshrrev_b64 v[4:5], v4, v[2:3]
	v_cndmask_b32_e32 v11, v12, v13, vcc_lo
.LBB4_20:                               ;   in Loop: Header=BB4_15 Depth=1
	s_and_not1_saveexec_b32 s0, s0
; %bb.21:                               ;   in Loop: Header=BB4_15 Depth=1
	v_mov_b64_e32 v[4:5], v[2:3]
	v_bfe_u32 v11, v2, 23, 1
; %bb.22:                               ;   in Loop: Header=BB4_15 Depth=1
	s_or_b32 exec_lo, exec_lo, s0
	s_delay_alu instid0(VALU_DEP_2) | instskip(NEXT) | instid1(VALU_DEP_2)
	v_lshrrev_b64 v[4:5], 20, v[4:5]
	v_cmp_gt_i32_e32 vcc_lo, 16, v11
	v_cmp_ne_u32_e64 s0, 0, v11
                                        ; implicit-def: $vgpr2
	s_delay_alu instid0(VALU_DEP_3) | instskip(NEXT) | instid1(VALU_DEP_1)
	v_dual_cndmask_b32 v5, 0, v5 :: v_dual_cndmask_b32 v4, 7, v4
	v_cmp_ne_u64_e32 vcc_lo, 0, v[4:5]
	s_or_b32 s0, s0, vcc_lo
	s_delay_alu instid0(SALU_CYCLE_1) | instskip(NEXT) | instid1(SALU_CYCLE_1)
	s_and_saveexec_b32 s1, s0
	s_xor_b32 s0, exec_lo, s1
; %bb.23:                               ;   in Loop: Header=BB4_15 Depth=1
	v_min_i32_e32 v2, 15, v11
	s_delay_alu instid0(VALU_DEP_1) | instskip(NEXT) | instid1(VALU_DEP_1)
	v_lshl_or_b32 v2, v2, 3, v10
                                        ; implicit-def: $vgpr10
	v_and_or_b32 v2, v4, 7, v2
; %bb.24:                               ;   in Loop: Header=BB4_15 Depth=1
	s_and_not1_saveexec_b32 s0, s0
; %bb.25:                               ;   in Loop: Header=BB4_15 Depth=1
	v_mov_b32_e32 v2, v10
; %bb.26:                               ;   in Loop: Header=BB4_15 Depth=1
	s_or_b32 exec_lo, exec_lo, s0
.LBB4_27:                               ;   in Loop: Header=BB4_15 Depth=1
	s_delay_alu instid0(SALU_CYCLE_1)
	s_or_b32 exec_lo, exec_lo, s13
                                        ; implicit-def: $vgpr10
.LBB4_28:                               ;   in Loop: Header=BB4_15 Depth=1
	s_and_not1_saveexec_b32 s0, s7
; %bb.29:                               ;   in Loop: Header=BB4_15 Depth=1
	v_or_b32_e32 v2, 0x7e, v10
; %bb.30:                               ;   in Loop: Header=BB4_15 Depth=1
	s_or_b32 exec_lo, exec_lo, s0
                                        ; implicit-def: $vgpr5
.LBB4_31:                               ;   in Loop: Header=BB4_15 Depth=1
	s_and_not1_saveexec_b32 s0, s6
	s_cbranch_execz .LBB4_14
; %bb.32:                               ;   in Loop: Header=BB4_15 Depth=1
	v_or_b32_e32 v2, 0x7f, v5
	s_branch .LBB4_14
.LBB4_33:
	s_endpgm
	.section	.rodata,"a",@progbits
	.p2align	6, 0x0
	.amdhsa_kernel _ZN4vllm32rms_norm_static_fp8_quant_kernelIN3c108BFloat16ENS1_13Float8_e4m3fnEEEvPT0_PKT_iS8_PKffii
		.amdhsa_group_segment_fixed_size 68
		.amdhsa_private_segment_fixed_size 0
		.amdhsa_kernarg_size 312
		.amdhsa_user_sgpr_count 2
		.amdhsa_user_sgpr_dispatch_ptr 0
		.amdhsa_user_sgpr_queue_ptr 0
		.amdhsa_user_sgpr_kernarg_segment_ptr 1
		.amdhsa_user_sgpr_dispatch_id 0
		.amdhsa_user_sgpr_kernarg_preload_length 0
		.amdhsa_user_sgpr_kernarg_preload_offset 0
		.amdhsa_user_sgpr_private_segment_size 0
		.amdhsa_wavefront_size32 1
		.amdhsa_uses_dynamic_stack 0
		.amdhsa_enable_private_segment 0
		.amdhsa_system_sgpr_workgroup_id_x 1
		.amdhsa_system_sgpr_workgroup_id_y 0
		.amdhsa_system_sgpr_workgroup_id_z 0
		.amdhsa_system_sgpr_workgroup_info 0
		.amdhsa_system_vgpr_workitem_id 0
		.amdhsa_next_free_vgpr 17
		.amdhsa_next_free_sgpr 18
		.amdhsa_named_barrier_count 0
		.amdhsa_reserve_vcc 1
		.amdhsa_float_round_mode_32 0
		.amdhsa_float_round_mode_16_64 0
		.amdhsa_float_denorm_mode_32 3
		.amdhsa_float_denorm_mode_16_64 3
		.amdhsa_fp16_overflow 0
		.amdhsa_memory_ordered 1
		.amdhsa_forward_progress 1
		.amdhsa_inst_pref_size 17
		.amdhsa_round_robin_scheduling 0
		.amdhsa_exception_fp_ieee_invalid_op 0
		.amdhsa_exception_fp_denorm_src 0
		.amdhsa_exception_fp_ieee_div_zero 0
		.amdhsa_exception_fp_ieee_overflow 0
		.amdhsa_exception_fp_ieee_underflow 0
		.amdhsa_exception_fp_ieee_inexact 0
		.amdhsa_exception_int_div_zero 0
	.end_amdhsa_kernel
	.section	.text._ZN4vllm32rms_norm_static_fp8_quant_kernelIN3c108BFloat16ENS1_13Float8_e4m3fnEEEvPT0_PKT_iS8_PKffii,"axG",@progbits,_ZN4vllm32rms_norm_static_fp8_quant_kernelIN3c108BFloat16ENS1_13Float8_e4m3fnEEEvPT0_PKT_iS8_PKffii,comdat
.Lfunc_end4:
	.size	_ZN4vllm32rms_norm_static_fp8_quant_kernelIN3c108BFloat16ENS1_13Float8_e4m3fnEEEvPT0_PKT_iS8_PKffii, .Lfunc_end4-_ZN4vllm32rms_norm_static_fp8_quant_kernelIN3c108BFloat16ENS1_13Float8_e4m3fnEEEvPT0_PKT_iS8_PKffii
                                        ; -- End function
	.set _ZN4vllm32rms_norm_static_fp8_quant_kernelIN3c108BFloat16ENS1_13Float8_e4m3fnEEEvPT0_PKT_iS8_PKffii.num_vgpr, 17
	.set _ZN4vllm32rms_norm_static_fp8_quant_kernelIN3c108BFloat16ENS1_13Float8_e4m3fnEEEvPT0_PKT_iS8_PKffii.num_agpr, 0
	.set _ZN4vllm32rms_norm_static_fp8_quant_kernelIN3c108BFloat16ENS1_13Float8_e4m3fnEEEvPT0_PKT_iS8_PKffii.numbered_sgpr, 18
	.set _ZN4vllm32rms_norm_static_fp8_quant_kernelIN3c108BFloat16ENS1_13Float8_e4m3fnEEEvPT0_PKT_iS8_PKffii.num_named_barrier, 0
	.set _ZN4vllm32rms_norm_static_fp8_quant_kernelIN3c108BFloat16ENS1_13Float8_e4m3fnEEEvPT0_PKT_iS8_PKffii.private_seg_size, 0
	.set _ZN4vllm32rms_norm_static_fp8_quant_kernelIN3c108BFloat16ENS1_13Float8_e4m3fnEEEvPT0_PKT_iS8_PKffii.uses_vcc, 1
	.set _ZN4vllm32rms_norm_static_fp8_quant_kernelIN3c108BFloat16ENS1_13Float8_e4m3fnEEEvPT0_PKT_iS8_PKffii.uses_flat_scratch, 0
	.set _ZN4vllm32rms_norm_static_fp8_quant_kernelIN3c108BFloat16ENS1_13Float8_e4m3fnEEEvPT0_PKT_iS8_PKffii.has_dyn_sized_stack, 0
	.set _ZN4vllm32rms_norm_static_fp8_quant_kernelIN3c108BFloat16ENS1_13Float8_e4m3fnEEEvPT0_PKT_iS8_PKffii.has_recursion, 0
	.set _ZN4vllm32rms_norm_static_fp8_quant_kernelIN3c108BFloat16ENS1_13Float8_e4m3fnEEEvPT0_PKT_iS8_PKffii.has_indirect_call, 0
	.section	.AMDGPU.csdata,"",@progbits
; Kernel info:
; codeLenInByte = 2128
; TotalNumSgprs: 20
; NumVgprs: 17
; ScratchSize: 0
; MemoryBound: 0
; FloatMode: 240
; IeeeMode: 1
; LDSByteSize: 68 bytes/workgroup (compile time only)
; SGPRBlocks: 0
; VGPRBlocks: 1
; NumSGPRsForWavesPerEU: 20
; NumVGPRsForWavesPerEU: 17
; NamedBarCnt: 0
; Occupancy: 16
; WaveLimiterHint : 0
; COMPUTE_PGM_RSRC2:SCRATCH_EN: 0
; COMPUTE_PGM_RSRC2:USER_SGPR: 2
; COMPUTE_PGM_RSRC2:TRAP_HANDLER: 0
; COMPUTE_PGM_RSRC2:TGID_X_EN: 1
; COMPUTE_PGM_RSRC2:TGID_Y_EN: 0
; COMPUTE_PGM_RSRC2:TGID_Z_EN: 0
; COMPUTE_PGM_RSRC2:TIDIG_COMP_CNT: 0
	.section	.text._ZN4vllm32rms_norm_static_fp8_quant_kernelIN3c108BFloat16ENS1_15Float8_e4m3fnuzEEEvPT0_PKT_iS8_PKffii,"axG",@progbits,_ZN4vllm32rms_norm_static_fp8_quant_kernelIN3c108BFloat16ENS1_15Float8_e4m3fnuzEEEvPT0_PKT_iS8_PKffii,comdat
	.protected	_ZN4vllm32rms_norm_static_fp8_quant_kernelIN3c108BFloat16ENS1_15Float8_e4m3fnuzEEEvPT0_PKT_iS8_PKffii ; -- Begin function _ZN4vllm32rms_norm_static_fp8_quant_kernelIN3c108BFloat16ENS1_15Float8_e4m3fnuzEEEvPT0_PKT_iS8_PKffii
	.globl	_ZN4vllm32rms_norm_static_fp8_quant_kernelIN3c108BFloat16ENS1_15Float8_e4m3fnuzEEEvPT0_PKT_iS8_PKffii
	.p2align	8
	.type	_ZN4vllm32rms_norm_static_fp8_quant_kernelIN3c108BFloat16ENS1_15Float8_e4m3fnuzEEEvPT0_PKT_iS8_PKffii,@function
_ZN4vllm32rms_norm_static_fp8_quant_kernelIN3c108BFloat16ENS1_15Float8_e4m3fnuzEEEvPT0_PKT_iS8_PKffii: ; @_ZN4vllm32rms_norm_static_fp8_quant_kernelIN3c108BFloat16ENS1_15Float8_e4m3fnuzEEEvPT0_PKT_iS8_PKffii
; %bb.0:
	s_clause 0x1
	s_load_b32 s12, s[0:1], 0x30
	s_load_b64 s[8:9], s[0:1], 0x8
	s_getreg_b32 s14, hwreg(HW_REG_IB_STS2, 6, 4)
	s_mov_b32 s3, exec_lo
                                        ; implicit-def: $sgpr15
                                        ; implicit-def: $sgpr16
	s_wait_kmcnt 0x0
	v_cmp_gt_i32_e64 s2, s12, v0
	v_cmpx_le_i32_e64 s12, v0
	s_xor_b32 s3, exec_lo, s3
	s_cbranch_execz .LBB5_2
; %bb.1:
	s_load_b32 s4, s[0:1], 0x44
	s_bfe_u32 s5, ttmp6, 0x4000c
	s_and_b32 s6, ttmp6, 15
	s_add_co_i32 s5, s5, 1
	s_delay_alu instid0(SALU_CYCLE_1) | instskip(NEXT) | instid1(SALU_CYCLE_1)
	s_mul_i32 s5, ttmp9, s5
	s_add_co_i32 s6, s6, s5
	s_cmp_eq_u32 s14, 0
	s_cselect_b32 s15, ttmp9, s6
	s_wait_kmcnt 0x0
	s_and_b32 s16, s4, 0xffff
.LBB5_2:
	s_or_saveexec_b32 s3, s3
	s_clause 0x2
	s_load_b128 s[4:7], s[0:1], 0x18
	s_load_b64 s[10:11], s[0:1], 0x0
	s_load_b32 s13, s[0:1], 0x10
	v_dual_mov_b32 v4, 0 :: v_dual_mov_b32 v2, s15
	v_mov_b32_e32 v1, s16
	s_xor_b32 exec_lo, exec_lo, s3
	s_cbranch_execz .LBB5_6
; %bb.3:
	s_load_b32 s15, s[0:1], 0x44
	s_bfe_u32 s16, ttmp6, 0x4000c
	s_and_b32 s17, ttmp6, 15
	s_add_co_i32 s16, s16, 1
	v_dual_mov_b32 v4, 0 :: v_dual_mov_b32 v1, v0
	s_mul_i32 s16, ttmp9, s16
	s_delay_alu instid0(SALU_CYCLE_1)
	s_add_co_i32 s17, s17, s16
	s_cmp_eq_u32 s14, 0
	s_mov_b32 s16, 0
	s_cselect_b32 s14, ttmp9, s17
	s_wait_kmcnt 0x0
	s_mul_i32 s17, s13, s14
	s_and_b32 s15, s15, 0xffff
.LBB5_4:                                ; =>This Inner Loop Header: Depth=1
	s_delay_alu instid0(SALU_CYCLE_1)
	v_dual_add_nc_u32 v2, s17, v1 :: v_dual_add_nc_u32 v1, s15, v1
	global_load_u16 v2, v2, s[8:9] scale_offset
	v_cmp_le_i32_e32 vcc_lo, s12, v1
	s_or_b32 s16, vcc_lo, s16
	s_wait_loadcnt 0x0
	v_fma_mix_f32_bf16 v4, v2, v2, v4 op_sel_hi:[1,1,0]
	s_and_not1_b32 exec_lo, exec_lo, s16
	s_cbranch_execnz .LBB5_4
; %bb.5:
	s_or_b32 exec_lo, exec_lo, s16
	v_dual_mov_b32 v2, s14 :: v_dual_mov_b32 v1, s15
.LBB5_6:
	s_or_b32 exec_lo, exec_lo, s3
	v_mbcnt_lo_u32_b32 v3, -1, 0
	v_and_b32_e32 v6, 0x3c0, v0
	s_mov_b32 s3, exec_lo
	s_delay_alu instid0(VALU_DEP_2) | instskip(NEXT) | instid1(VALU_DEP_2)
	v_cmp_ne_u32_e32 vcc_lo, 63, v3
	v_sub_nc_u32_e64 v6, v1, v6 clamp
	v_add_nc_u32_e32 v8, 1, v3
	v_add_co_ci_u32_e64 v5, null, 0, v3, vcc_lo
	v_cmp_gt_u32_e32 vcc_lo, 62, v3
	s_delay_alu instid0(VALU_DEP_2)
	v_lshlrev_b32_e32 v5, 2, v5
	v_cndmask_b32_e64 v7, 0, 2, vcc_lo
	v_cmp_lt_u32_e32 vcc_lo, v8, v6
	v_add_nc_u32_e32 v8, 2, v3
	ds_bpermute_b32 v5, v5, v4
	v_add_lshl_u32 v7, v7, v3, 2
	s_wait_dscnt 0x0
	v_add_f32_e32 v5, v4, v5
	s_delay_alu instid0(VALU_DEP_1)
	v_cndmask_b32_e32 v4, v4, v5, vcc_lo
	v_cmp_gt_u32_e32 vcc_lo, 60, v3
	ds_bpermute_b32 v5, v7, v4
	v_cndmask_b32_e64 v7, 0, 4, vcc_lo
	v_cmp_lt_u32_e32 vcc_lo, v8, v6
	v_add_nc_u32_e32 v8, 4, v3
	s_delay_alu instid0(VALU_DEP_3) | instskip(SKIP_2) | instid1(VALU_DEP_1)
	v_add_lshl_u32 v7, v7, v3, 2
	s_wait_dscnt 0x0
	v_add_f32_e32 v5, v4, v5
	v_cndmask_b32_e32 v4, v4, v5, vcc_lo
	v_cmp_gt_u32_e32 vcc_lo, 56, v3
	ds_bpermute_b32 v5, v7, v4
	v_cndmask_b32_e64 v7, 0, 8, vcc_lo
	v_cmp_lt_u32_e32 vcc_lo, v8, v6
	v_add_nc_u32_e32 v8, 8, v3
	s_delay_alu instid0(VALU_DEP_3) | instskip(SKIP_2) | instid1(VALU_DEP_1)
	v_add_lshl_u32 v7, v7, v3, 2
	s_wait_dscnt 0x0
	v_add_f32_e32 v5, v4, v5
	v_cndmask_b32_e32 v4, v4, v5, vcc_lo
	v_cmp_gt_u32_e32 vcc_lo, 48, v3
	ds_bpermute_b32 v5, v7, v4
	v_cndmask_b32_e64 v7, 0, 16, vcc_lo
	v_cmp_lt_u32_e32 vcc_lo, v8, v6
	s_delay_alu instid0(VALU_DEP_2) | instskip(SKIP_2) | instid1(VALU_DEP_1)
	v_add_lshl_u32 v7, v7, v3, 2
	s_wait_dscnt 0x0
	v_add_f32_e32 v5, v4, v5
	v_cndmask_b32_e32 v5, v4, v5, vcc_lo
	ds_bpermute_b32 v4, v7, v5
	v_add_nc_u32_e32 v7, 16, v3
	s_delay_alu instid0(VALU_DEP_1) | instskip(SKIP_2) | instid1(VALU_DEP_1)
	v_cmp_lt_u32_e32 vcc_lo, v7, v6
	s_wait_dscnt 0x0
	v_dual_add_f32 v8, v5, v4 :: v_dual_lshlrev_b32 v4, 2, v3
	v_dual_cndmask_b32 v5, v5, v8, vcc_lo :: v_dual_bitop2_b32 v8, 32, v3 bitop3:0x54
	ds_bpermute_b32 v7, v4, v5 offset:128
	v_cmp_lt_u32_e32 vcc_lo, v8, v6
	s_wait_dscnt 0x0
	v_add_f32_e32 v7, v5, v7
	s_delay_alu instid0(VALU_DEP_1)
	v_cndmask_b32_e32 v5, v5, v7, vcc_lo
	v_cmpx_eq_u32_e32 0, v3
; %bb.7:
	v_lshrrev_b32_e32 v6, 4, v0
	s_delay_alu instid0(VALU_DEP_1)
	v_and_b32_e32 v6, 60, v6
	ds_store_b32 v6, v5
; %bb.8:
	s_or_b32 exec_lo, exec_lo, s3
	s_delay_alu instid0(SALU_CYCLE_1)
	s_mov_b32 s14, exec_lo
	s_wait_dscnt 0x0
	s_barrier_signal -1
	s_barrier_wait -1
	v_cmpx_gt_u32_e32 16, v0
	s_cbranch_execz .LBB5_10
; %bb.9:
	ds_load_b32 v5, v4
	v_dual_add_nc_u32 v8, 63, v1 :: v_dual_bitop2_b32 v6, 15, v3 bitop3:0x40
	v_or_b32_e32 v4, 32, v4
	s_delay_alu instid0(VALU_DEP_2) | instskip(NEXT) | instid1(VALU_DEP_3)
	v_cmp_ne_u32_e32 vcc_lo, 15, v6
	v_dual_lshrrev_b32 v8, 6, v8 :: v_dual_add_nc_u32 v11, 2, v6
	v_cmp_gt_u32_e64 s3, 12, v6
	v_add_co_ci_u32_e64 v7, null, 0, v3, vcc_lo
	v_cmp_gt_u32_e32 vcc_lo, 14, v6
	s_delay_alu instid0(VALU_DEP_2)
	v_lshlrev_b32_e32 v7, 2, v7
	v_cndmask_b32_e64 v9, 0, 2, vcc_lo
	s_wait_dscnt 0x0
	ds_bpermute_b32 v7, v7, v5
	v_add_nc_u32_e32 v10, 1, v6
	v_add_lshl_u32 v9, v9, v3, 2
	s_wait_dscnt 0x0
	v_add_f32_e32 v7, v5, v7
	s_delay_alu instid0(VALU_DEP_3) | instskip(SKIP_2) | instid1(VALU_DEP_4)
	v_cmp_lt_u32_e32 vcc_lo, v10, v8
	v_cndmask_b32_e64 v10, 0, 4, s3
	v_cmp_lt_u32_e64 s3, v11, v8
	v_cndmask_b32_e32 v7, v5, v7, vcc_lo
	s_delay_alu instid0(VALU_DEP_3) | instskip(SKIP_3) | instid1(VALU_DEP_1)
	v_add_lshl_u32 v3, v10, v3, 2
	ds_bpermute_b32 v9, v9, v7
	s_wait_dscnt 0x0
	v_add_f32_e32 v9, v7, v9
	v_dual_cndmask_b32 v7, v7, v9, s3 :: v_dual_add_nc_u32 v9, 4, v6
	ds_bpermute_b32 v3, v3, v7
	v_cmp_lt_u32_e64 s3, v9, v8
	s_wait_dscnt 0x0
	v_add_f32_e32 v3, v7, v3
	s_delay_alu instid0(VALU_DEP_1) | instskip(SKIP_3) | instid1(VALU_DEP_1)
	v_cndmask_b32_e64 v3, v7, v3, s3
	ds_bpermute_b32 v4, v4, v3
	s_wait_dscnt 0x0
	v_dual_add_nc_u32 v6, 8, v6 :: v_dual_add_f32 v4, v3, v4
	v_cmp_lt_u32_e64 s3, v6, v8
	s_delay_alu instid0(VALU_DEP_1) | instskip(NEXT) | instid1(VALU_DEP_1)
	v_cndmask_b32_e64 v3, v3, v4, s3
	v_cndmask_b32_e32 v5, v5, v3, vcc_lo
.LBB5_10:
	s_or_b32 exec_lo, exec_lo, s14
	s_delay_alu instid0(SALU_CYCLE_1)
	s_mov_b32 s3, exec_lo
	v_cmpx_eq_u32_e32 0, v0
	s_cbranch_execz .LBB5_12
; %bb.11:
	s_cvt_f32_i32 s14, s12
	s_wait_xcnt 0x0
	s_load_b32 s0, s[0:1], 0x28
	s_delay_alu instid0(SALU_CYCLE_1) | instskip(SKIP_1) | instid1(VALU_DEP_2)
	v_div_scale_f32 v3, null, s14, s14, v5
	v_div_scale_f32 v7, vcc_lo, v5, s14, v5
	v_rcp_f32_e32 v4, v3
	v_nop
	s_delay_alu instid0(TRANS32_DEP_1) | instskip(NEXT) | instid1(VALU_DEP_1)
	v_fma_f32 v6, -v3, v4, 1.0
	v_fmac_f32_e32 v4, v6, v4
	s_delay_alu instid0(VALU_DEP_1) | instskip(NEXT) | instid1(VALU_DEP_1)
	v_mul_f32_e32 v6, v7, v4
	v_fma_f32 v8, -v3, v6, v7
	s_delay_alu instid0(VALU_DEP_1) | instskip(NEXT) | instid1(VALU_DEP_1)
	v_fmac_f32_e32 v6, v8, v4
	v_fma_f32 v3, -v3, v6, v7
	s_delay_alu instid0(VALU_DEP_1) | instskip(NEXT) | instid1(VALU_DEP_1)
	v_div_fmas_f32 v3, v3, v4, v6
	v_div_fixup_f32 v3, v3, s14, v5
	s_wait_kmcnt 0x0
	s_delay_alu instid0(VALU_DEP_1) | instskip(NEXT) | instid1(VALU_DEP_1)
	v_add_f32_e32 v3, s0, v3
	v_mul_f32_e32 v4, 0x4b800000, v3
	v_cmp_gt_f32_e32 vcc_lo, 0x800000, v3
	s_delay_alu instid0(VALU_DEP_2) | instskip(NEXT) | instid1(VALU_DEP_1)
	v_cndmask_b32_e32 v3, v3, v4, vcc_lo
	v_rsq_f32_e32 v3, v3
	v_nop
	s_delay_alu instid0(TRANS32_DEP_1) | instskip(NEXT) | instid1(VALU_DEP_1)
	v_mul_f32_e32 v4, 0x45800000, v3
	v_dual_cndmask_b32 v3, v3, v4 :: v_dual_mov_b32 v4, 0
	ds_store_b32 v4, v3 offset:64
.LBB5_12:
	s_or_b32 exec_lo, exec_lo, s3
	s_wait_dscnt 0x0
	s_barrier_signal -1
	s_barrier_wait -1
	s_wait_xcnt 0x0
	s_and_saveexec_b32 s0, s2
	s_cbranch_execz .LBB5_27
; %bb.13:
	s_wait_kmcnt 0x0
	s_load_b32 s0, s[6:7], 0x0
	v_mul_lo_u32 v7, s13, v2
	v_mul_lo_u32 v8, s12, v2
	s_mov_b32 s2, 0
	s_mov_b32 s3, 0x43600000
	s_wait_kmcnt 0x0
	v_div_scale_f32 v3, null, s0, s0, 1.0
	v_div_scale_f32 v9, vcc_lo, 1.0, s0, 1.0
	s_delay_alu instid0(VALU_DEP_2)
	v_rcp_f32_e32 v4, v3
	v_xor_b32_e32 v5, 0x80000000, v3
	s_delay_alu instid0(TRANS32_DEP_1) | instid1(VALU_DEP_1)
	v_fma_f32 v3, v5, v4, 1.0
	s_delay_alu instid0(VALU_DEP_1) | instskip(NEXT) | instid1(VALU_DEP_1)
	v_dual_fmac_f32 v4, v3, v4 :: v_dual_mov_b32 v3, 0
	v_mul_f32_e32 v10, v9, v4
	s_delay_alu instid0(VALU_DEP_1) | instskip(NEXT) | instid1(VALU_DEP_1)
	v_fma_f32 v6, v5, v10, v9
	v_fmac_f32_e32 v10, v6, v4
	ds_load_b32 v6, v3 offset:64
	v_fmac_f32_e32 v9, v5, v10
	s_delay_alu instid0(VALU_DEP_1) | instskip(NEXT) | instid1(VALU_DEP_1)
	v_div_fmas_f32 v2, v9, v4, v10
	v_div_fixup_f32 v9, v2, s0, 1.0
	s_branch .LBB5_16
.LBB5_14:                               ;   in Loop: Header=BB5_16 Depth=1
	s_or_b32 exec_lo, exec_lo, s0
.LBB5_15:                               ;   in Loop: Header=BB5_16 Depth=1
	s_delay_alu instid0(SALU_CYCLE_1)
	s_or_b32 exec_lo, exec_lo, s6
	v_add_nc_u32_e32 v4, v8, v0
	v_add_nc_u32_e32 v0, v0, v1
	global_store_b8 v4, v2, s[10:11]
	v_cmp_le_i32_e32 vcc_lo, s12, v0
	s_or_b32 s2, vcc_lo, s2
	s_wait_xcnt 0x0
	s_and_not1_b32 exec_lo, exec_lo, s2
	s_cbranch_execz .LBB5_27
.LBB5_16:                               ; =>This Inner Loop Header: Depth=1
	v_add_nc_u32_e32 v2, v7, v0
	global_load_u16 v4, v2, s[8:9] scale_offset
	global_load_u16 v5, v0, s[4:5] scale_offset
	s_wait_loadcnt 0x1
	s_wait_xcnt 0x1
	v_lshlrev_b32_e32 v2, 16, v4
	s_wait_dscnt 0x0
	s_delay_alu instid0(VALU_DEP_1) | instskip(NEXT) | instid1(VALU_DEP_1)
	v_mul_f32_e32 v2, v6, v2
	v_bfe_u32 v4, v2, 16, 1
	v_cmp_o_f32_e32 vcc_lo, v2, v2
	s_delay_alu instid0(VALU_DEP_2) | instskip(NEXT) | instid1(VALU_DEP_1)
	v_add3_u32 v4, v2, v4, 0x7fff
	v_and_b32_e32 v4, 0xffff0000, v4
	s_delay_alu instid0(VALU_DEP_1) | instskip(SKIP_2) | instid1(VALU_DEP_1)
	v_cndmask_b32_e32 v2, 0x7fc00000, v4, vcc_lo
	s_wait_loadcnt 0x0
	v_lshlrev_b32_e32 v4, 16, v5
	v_mul_f32_e32 v2, v2, v4
	s_delay_alu instid0(VALU_DEP_1) | instskip(SKIP_1) | instid1(VALU_DEP_2)
	v_bfe_u32 v4, v2, 16, 1
	v_cmp_o_f32_e32 vcc_lo, v2, v2
	v_add3_u32 v4, v2, v4, 0x7fff
	s_delay_alu instid0(VALU_DEP_1) | instskip(NEXT) | instid1(VALU_DEP_1)
	v_and_b32_e32 v4, 0xffff0000, v4
	v_cndmask_b32_e32 v2, 0x7fc00000, v4, vcc_lo
	s_delay_alu instid0(VALU_DEP_1) | instskip(NEXT) | instid1(VALU_DEP_1)
	v_mul_f32_e32 v2, v9, v2
	v_minmax_num_f32 v10, v2, s3, 0xc3600000
	s_delay_alu instid0(VALU_DEP_1) | instskip(NEXT) | instid1(VALU_DEP_1)
	v_and_b32_e32 v2, 0x7f800000, v10
	v_cmp_ne_u64_e32 vcc_lo, 0x7f800000, v[2:3]
	v_mov_b32_e32 v2, 0x80
	s_wait_xcnt 0x0
	s_and_saveexec_b32 s6, vcc_lo
	s_cbranch_execz .LBB5_15
; %bb.17:                               ;   in Loop: Header=BB5_16 Depth=1
	v_and_b32_e32 v2, 0x7fffffff, v10
	s_delay_alu instid0(VALU_DEP_1) | instskip(SKIP_1) | instid1(SALU_CYCLE_1)
	v_cmp_gt_u64_e32 vcc_lo, 0x43700001, v[2:3]
                                        ; implicit-def: $vgpr2
	s_and_saveexec_b32 s0, vcc_lo
	s_xor_b32 s7, exec_lo, s0
	s_cbranch_execz .LBB5_25
; %bb.18:                               ;   in Loop: Header=BB5_16 Depth=1
	v_mov_b32_e32 v2, 0
	s_mov_b32 s13, exec_lo
	v_cmpx_ne_u32_e32 0, v10
	s_cbranch_execz .LBB5_24
; %bb.19:                               ;   in Loop: Header=BB5_16 Depth=1
	v_bfe_u32 v11, v10, 23, 8
	v_and_b32_e32 v4, 0x7fffff, v10
	s_delay_alu instid0(VALU_DEP_2) | instskip(SKIP_2) | instid1(VALU_DEP_3)
	v_sub_nc_u32_e64 v2, 0x78, v11 clamp
	v_cmp_eq_u32_e32 vcc_lo, 0, v11
	v_add_nc_u32_e32 v11, 0xffffff89, v11
	v_cndmask_b32_e64 v16, v2, 0x77, vcc_lo
	v_or_b32_e32 v2, 0x800000, v4
	s_delay_alu instid0(VALU_DEP_2) | instskip(NEXT) | instid1(VALU_DEP_2)
	v_dual_add_nc_u32 v5, 20, v16 :: v_dual_add_nc_u32 v12, 19, v16
	v_cndmask_b32_e32 v2, v2, v4, vcc_lo
	s_delay_alu instid0(VALU_DEP_2) | instskip(NEXT) | instid1(VALU_DEP_3)
	v_lshlrev_b64_e64 v[4:5], v5, -1
	v_lshlrev_b64_e64 v[12:13], v12, 1
	s_delay_alu instid0(VALU_DEP_3) | instskip(NEXT) | instid1(VALU_DEP_3)
	v_lshrrev_b64 v[14:15], v16, v[2:3]
	v_bfi_b32 v5, v5, 0, 0
	s_delay_alu instid0(VALU_DEP_4) | instskip(NEXT) | instid1(VALU_DEP_3)
	v_bfi_b32 v4, v4, 0, v2
	v_and_b32_e32 v2, 0x100000, v14
	s_delay_alu instid0(VALU_DEP_2) | instskip(NEXT) | instid1(VALU_DEP_2)
	v_cmp_eq_u64_e64 s0, v[4:5], v[12:13]
	v_cmp_eq_u64_e64 s1, 0, v[2:3]
	v_cndmask_b32_e64 v2, v11, 0xffffff8a, vcc_lo
	v_lshrrev_b32_e32 v4, 23, v14
                                        ; implicit-def: $vgpr11
	s_delay_alu instid0(VALU_DEP_1) | instskip(SKIP_3) | instid1(VALU_DEP_2)
	v_add3_u32 v12, v2, v16, v4
	s_and_b32 vcc_lo, s1, s0
	s_mov_b32 s0, exec_lo
	v_subrev_co_ci_u32_e64 v5, null, 0, v14, vcc_lo
	v_add_nc_u32_e32 v13, -1, v12
	s_delay_alu instid0(VALU_DEP_2) | instskip(NEXT) | instid1(VALU_DEP_1)
	v_and_b32_e32 v2, 0xfffff, v5
                                        ; implicit-def: $vgpr4_vgpr5
	v_add_nc_u32_e32 v2, v2, v14
	s_delay_alu instid0(VALU_DEP_3)
	v_cmpx_ne_u32_e32 0, v13
	s_xor_b32 s0, exec_lo, s0
	s_cbranch_execz .LBB5_21
; %bb.20:                               ;   in Loop: Header=BB5_16 Depth=1
	s_delay_alu instid0(VALU_DEP_2) | instskip(SKIP_2) | instid1(VALU_DEP_2)
	v_and_b32_e32 v14, 0x1000000, v2
	v_mov_b32_e32 v15, v3
	v_bfe_u32 v4, v2, 24, 1
	v_cmp_eq_u64_e32 vcc_lo, 0, v[14:15]
	s_delay_alu instid0(VALU_DEP_2)
	v_lshrrev_b64 v[4:5], v4, v[2:3]
	v_cndmask_b32_e32 v11, v12, v13, vcc_lo
.LBB5_21:                               ;   in Loop: Header=BB5_16 Depth=1
	s_and_not1_saveexec_b32 s0, s0
; %bb.22:                               ;   in Loop: Header=BB5_16 Depth=1
	v_mov_b64_e32 v[4:5], v[2:3]
	v_bfe_u32 v11, v2, 23, 1
; %bb.23:                               ;   in Loop: Header=BB5_16 Depth=1
	s_or_b32 exec_lo, exec_lo, s0
	s_delay_alu instid0(VALU_DEP_2) | instskip(NEXT) | instid1(VALU_DEP_2)
	v_lshrrev_b64 v[4:5], 20, v[4:5]
	v_dual_lshrrev_b32 v2, 24, v10 :: v_dual_min_i32 v10, 15, v11
	v_cmp_gt_i32_e32 vcc_lo, 16, v11
	v_cmp_eq_u32_e64 s0, 0, v11
	s_delay_alu instid0(VALU_DEP_3) | instskip(SKIP_1) | instid1(VALU_DEP_2)
	v_and_b32_e32 v2, 0x80, v2
	v_dual_cndmask_b32 v5, 0, v5 :: v_dual_cndmask_b32 v4, 7, v4
	v_lshl_or_b32 v2, v10, 3, v2
	s_delay_alu instid0(VALU_DEP_2) | instskip(NEXT) | instid1(VALU_DEP_2)
	v_cmp_eq_u64_e32 vcc_lo, 0, v[4:5]
	v_and_or_b32 v2, v4, 7, v2
	s_and_b32 s0, s0, vcc_lo
	s_delay_alu instid0(VALU_DEP_1) | instid1(SALU_CYCLE_1)
	v_cndmask_b32_e64 v2, v2, 0, s0
.LBB5_24:                               ;   in Loop: Header=BB5_16 Depth=1
	s_or_b32 exec_lo, exec_lo, s13
                                        ; implicit-def: $vgpr10
.LBB5_25:                               ;   in Loop: Header=BB5_16 Depth=1
	s_and_not1_saveexec_b32 s0, s7
	s_cbranch_execz .LBB5_14
; %bb.26:                               ;   in Loop: Header=BB5_16 Depth=1
	v_lshrrev_b32_e32 v2, 24, v10
	s_delay_alu instid0(VALU_DEP_1)
	v_or_b32_e32 v2, 0x7f, v2
	s_branch .LBB5_14
.LBB5_27:
	s_endpgm
	.section	.rodata,"a",@progbits
	.p2align	6, 0x0
	.amdhsa_kernel _ZN4vllm32rms_norm_static_fp8_quant_kernelIN3c108BFloat16ENS1_15Float8_e4m3fnuzEEEvPT0_PKT_iS8_PKffii
		.amdhsa_group_segment_fixed_size 68
		.amdhsa_private_segment_fixed_size 0
		.amdhsa_kernarg_size 312
		.amdhsa_user_sgpr_count 2
		.amdhsa_user_sgpr_dispatch_ptr 0
		.amdhsa_user_sgpr_queue_ptr 0
		.amdhsa_user_sgpr_kernarg_segment_ptr 1
		.amdhsa_user_sgpr_dispatch_id 0
		.amdhsa_user_sgpr_kernarg_preload_length 0
		.amdhsa_user_sgpr_kernarg_preload_offset 0
		.amdhsa_user_sgpr_private_segment_size 0
		.amdhsa_wavefront_size32 1
		.amdhsa_uses_dynamic_stack 0
		.amdhsa_enable_private_segment 0
		.amdhsa_system_sgpr_workgroup_id_x 1
		.amdhsa_system_sgpr_workgroup_id_y 0
		.amdhsa_system_sgpr_workgroup_id_z 0
		.amdhsa_system_sgpr_workgroup_info 0
		.amdhsa_system_vgpr_workitem_id 0
		.amdhsa_next_free_vgpr 17
		.amdhsa_next_free_sgpr 18
		.amdhsa_named_barrier_count 0
		.amdhsa_reserve_vcc 1
		.amdhsa_float_round_mode_32 0
		.amdhsa_float_round_mode_16_64 0
		.amdhsa_float_denorm_mode_32 3
		.amdhsa_float_denorm_mode_16_64 3
		.amdhsa_fp16_overflow 0
		.amdhsa_memory_ordered 1
		.amdhsa_forward_progress 1
		.amdhsa_inst_pref_size 17
		.amdhsa_round_robin_scheduling 0
		.amdhsa_exception_fp_ieee_invalid_op 0
		.amdhsa_exception_fp_denorm_src 0
		.amdhsa_exception_fp_ieee_div_zero 0
		.amdhsa_exception_fp_ieee_overflow 0
		.amdhsa_exception_fp_ieee_underflow 0
		.amdhsa_exception_fp_ieee_inexact 0
		.amdhsa_exception_int_div_zero 0
	.end_amdhsa_kernel
	.section	.text._ZN4vllm32rms_norm_static_fp8_quant_kernelIN3c108BFloat16ENS1_15Float8_e4m3fnuzEEEvPT0_PKT_iS8_PKffii,"axG",@progbits,_ZN4vllm32rms_norm_static_fp8_quant_kernelIN3c108BFloat16ENS1_15Float8_e4m3fnuzEEEvPT0_PKT_iS8_PKffii,comdat
.Lfunc_end5:
	.size	_ZN4vllm32rms_norm_static_fp8_quant_kernelIN3c108BFloat16ENS1_15Float8_e4m3fnuzEEEvPT0_PKT_iS8_PKffii, .Lfunc_end5-_ZN4vllm32rms_norm_static_fp8_quant_kernelIN3c108BFloat16ENS1_15Float8_e4m3fnuzEEEvPT0_PKT_iS8_PKffii
                                        ; -- End function
	.set _ZN4vllm32rms_norm_static_fp8_quant_kernelIN3c108BFloat16ENS1_15Float8_e4m3fnuzEEEvPT0_PKT_iS8_PKffii.num_vgpr, 17
	.set _ZN4vllm32rms_norm_static_fp8_quant_kernelIN3c108BFloat16ENS1_15Float8_e4m3fnuzEEEvPT0_PKT_iS8_PKffii.num_agpr, 0
	.set _ZN4vllm32rms_norm_static_fp8_quant_kernelIN3c108BFloat16ENS1_15Float8_e4m3fnuzEEEvPT0_PKT_iS8_PKffii.numbered_sgpr, 18
	.set _ZN4vllm32rms_norm_static_fp8_quant_kernelIN3c108BFloat16ENS1_15Float8_e4m3fnuzEEEvPT0_PKT_iS8_PKffii.num_named_barrier, 0
	.set _ZN4vllm32rms_norm_static_fp8_quant_kernelIN3c108BFloat16ENS1_15Float8_e4m3fnuzEEEvPT0_PKT_iS8_PKffii.private_seg_size, 0
	.set _ZN4vllm32rms_norm_static_fp8_quant_kernelIN3c108BFloat16ENS1_15Float8_e4m3fnuzEEEvPT0_PKT_iS8_PKffii.uses_vcc, 1
	.set _ZN4vllm32rms_norm_static_fp8_quant_kernelIN3c108BFloat16ENS1_15Float8_e4m3fnuzEEEvPT0_PKT_iS8_PKffii.uses_flat_scratch, 0
	.set _ZN4vllm32rms_norm_static_fp8_quant_kernelIN3c108BFloat16ENS1_15Float8_e4m3fnuzEEEvPT0_PKT_iS8_PKffii.has_dyn_sized_stack, 0
	.set _ZN4vllm32rms_norm_static_fp8_quant_kernelIN3c108BFloat16ENS1_15Float8_e4m3fnuzEEEvPT0_PKT_iS8_PKffii.has_recursion, 0
	.set _ZN4vllm32rms_norm_static_fp8_quant_kernelIN3c108BFloat16ENS1_15Float8_e4m3fnuzEEEvPT0_PKT_iS8_PKffii.has_indirect_call, 0
	.section	.AMDGPU.csdata,"",@progbits
; Kernel info:
; codeLenInByte = 2116
; TotalNumSgprs: 20
; NumVgprs: 17
; ScratchSize: 0
; MemoryBound: 0
; FloatMode: 240
; IeeeMode: 1
; LDSByteSize: 68 bytes/workgroup (compile time only)
; SGPRBlocks: 0
; VGPRBlocks: 1
; NumSGPRsForWavesPerEU: 20
; NumVGPRsForWavesPerEU: 17
; NamedBarCnt: 0
; Occupancy: 16
; WaveLimiterHint : 0
; COMPUTE_PGM_RSRC2:SCRATCH_EN: 0
; COMPUTE_PGM_RSRC2:USER_SGPR: 2
; COMPUTE_PGM_RSRC2:TRAP_HANDLER: 0
; COMPUTE_PGM_RSRC2:TGID_X_EN: 1
; COMPUTE_PGM_RSRC2:TGID_Y_EN: 0
; COMPUTE_PGM_RSRC2:TGID_Z_EN: 0
; COMPUTE_PGM_RSRC2:TIDIG_COMP_CNT: 0
	.section	.text._ZN4vllm42fused_add_rms_norm_static_fp8_quant_kernelIfLi8EN3c1013Float8_e4m3fnEEENSt9enable_ifIXooeqT0_Li0Entsr12_typeConvertIT_EE6existsEvE4typeEPT1_PS4_iS9_PKS4_PKffii,"axG",@progbits,_ZN4vllm42fused_add_rms_norm_static_fp8_quant_kernelIfLi8EN3c1013Float8_e4m3fnEEENSt9enable_ifIXooeqT0_Li0Entsr12_typeConvertIT_EE6existsEvE4typeEPT1_PS4_iS9_PKS4_PKffii,comdat
	.protected	_ZN4vllm42fused_add_rms_norm_static_fp8_quant_kernelIfLi8EN3c1013Float8_e4m3fnEEENSt9enable_ifIXooeqT0_Li0Entsr12_typeConvertIT_EE6existsEvE4typeEPT1_PS4_iS9_PKS4_PKffii ; -- Begin function _ZN4vllm42fused_add_rms_norm_static_fp8_quant_kernelIfLi8EN3c1013Float8_e4m3fnEEENSt9enable_ifIXooeqT0_Li0Entsr12_typeConvertIT_EE6existsEvE4typeEPT1_PS4_iS9_PKS4_PKffii
	.globl	_ZN4vllm42fused_add_rms_norm_static_fp8_quant_kernelIfLi8EN3c1013Float8_e4m3fnEEENSt9enable_ifIXooeqT0_Li0Entsr12_typeConvertIT_EE6existsEvE4typeEPT1_PS4_iS9_PKS4_PKffii
	.p2align	8
	.type	_ZN4vllm42fused_add_rms_norm_static_fp8_quant_kernelIfLi8EN3c1013Float8_e4m3fnEEENSt9enable_ifIXooeqT0_Li0Entsr12_typeConvertIT_EE6existsEvE4typeEPT1_PS4_iS9_PKS4_PKffii,@function
_ZN4vllm42fused_add_rms_norm_static_fp8_quant_kernelIfLi8EN3c1013Float8_e4m3fnEEENSt9enable_ifIXooeqT0_Li0Entsr12_typeConvertIT_EE6existsEvE4typeEPT1_PS4_iS9_PKS4_PKffii: ; @_ZN4vllm42fused_add_rms_norm_static_fp8_quant_kernelIfLi8EN3c1013Float8_e4m3fnEEENSt9enable_ifIXooeqT0_Li0Entsr12_typeConvertIT_EE6existsEvE4typeEPT1_PS4_iS9_PKS4_PKffii
; %bb.0:
	s_clause 0x1
	s_load_b32 s11, s[0:1], 0x38
	s_load_b64 s[12:13], s[0:1], 0x18
	s_getreg_b32 s14, hwreg(HW_REG_IB_STS2, 6, 4)
	s_mov_b32 s3, exec_lo
                                        ; implicit-def: $sgpr8
                                        ; implicit-def: $sgpr9
	s_wait_kmcnt 0x0
	v_cmp_gt_i32_e64 s2, s11, v0
	v_cmpx_le_i32_e64 s11, v0
	s_xor_b32 s3, exec_lo, s3
	s_cbranch_execz .LBB6_2
; %bb.1:
	s_load_b32 s4, s[0:1], 0x4c
	s_bfe_u32 s5, ttmp6, 0x4000c
	s_and_b32 s6, ttmp6, 15
	s_add_co_i32 s5, s5, 1
	s_delay_alu instid0(SALU_CYCLE_1) | instskip(NEXT) | instid1(SALU_CYCLE_1)
	s_mul_i32 s5, ttmp9, s5
	s_add_co_i32 s6, s6, s5
	s_cmp_eq_u32 s14, 0
	s_cselect_b32 s8, ttmp9, s6
	s_wait_kmcnt 0x0
	s_and_b32 s9, s4, 0xffff
.LBB6_2:
	s_or_saveexec_b32 s3, s3
	s_load_b128 s[4:7], s[0:1], 0x20
	v_dual_mov_b32 v4, 0 :: v_dual_mov_b32 v2, s8
	v_mov_b32_e32 v1, s9
	s_xor_b32 exec_lo, exec_lo, s3
	s_cbranch_execz .LBB6_6
; %bb.3:
	s_clause 0x1
	s_load_b96 s[8:10], s[0:1], 0x8
	s_load_b32 s18, s[0:1], 0x4c
	s_bfe_u32 s15, ttmp6, 0x4000c
	s_and_b32 s16, ttmp6, 15
	s_add_co_i32 s15, s15, 1
	v_dual_mov_b32 v4, 0 :: v_dual_mov_b32 v1, v0
	s_mul_i32 s17, ttmp9, s15
	s_mov_b32 s15, 0
	s_add_co_i32 s16, s16, s17
	s_cmp_eq_u32 s14, 0
	s_cselect_b32 s14, ttmp9, s16
	s_delay_alu instid0(SALU_CYCLE_1)
	s_mul_i32 s16, s11, s14
	s_wait_kmcnt 0x0
	s_mul_i32 s17, s10, s14
	s_and_b32 s10, s18, 0xffff
.LBB6_4:                                ; =>This Inner Loop Header: Depth=1
	v_dual_add_nc_u32 v2, s17, v1 :: v_dual_add_nc_u32 v3, s16, v1
	global_load_b32 v5, v2, s[8:9] scale_offset
	global_load_b32 v6, v3, s[12:13] scale_offset
	s_wait_loadcnt 0x0
	s_wait_xcnt 0x1
	v_dual_add_f32 v2, v5, v6 :: v_dual_add_nc_u32 v1, s10, v1
	s_delay_alu instid0(VALU_DEP_1) | instskip(NEXT) | instid1(VALU_DEP_2)
	v_cmp_le_i32_e32 vcc_lo, s11, v1
	v_fmac_f32_e32 v4, v2, v2
	s_or_b32 s15, vcc_lo, s15
	global_store_b32 v3, v2, s[12:13] scale_offset
	s_wait_xcnt 0x0
	s_and_not1_b32 exec_lo, exec_lo, s15
	s_cbranch_execnz .LBB6_4
; %bb.5:
	s_or_b32 exec_lo, exec_lo, s15
	v_dual_mov_b32 v2, s14 :: v_dual_mov_b32 v1, s10
.LBB6_6:
	s_or_b32 exec_lo, exec_lo, s3
	v_mbcnt_lo_u32_b32 v3, -1, 0
	v_and_b32_e32 v6, 0x3c0, v0
	s_load_b64 s[8:9], s[0:1], 0x0
	s_mov_b32 s3, exec_lo
	s_delay_alu instid0(VALU_DEP_2) | instskip(NEXT) | instid1(VALU_DEP_2)
	v_cmp_ne_u32_e32 vcc_lo, 63, v3
	v_sub_nc_u32_e64 v6, v1, v6 clamp
	v_add_nc_u32_e32 v8, 1, v3
	v_add_co_ci_u32_e64 v5, null, 0, v3, vcc_lo
	v_cmp_gt_u32_e32 vcc_lo, 62, v3
	s_delay_alu instid0(VALU_DEP_2)
	v_lshlrev_b32_e32 v5, 2, v5
	v_cndmask_b32_e64 v7, 0, 2, vcc_lo
	v_cmp_lt_u32_e32 vcc_lo, v8, v6
	v_add_nc_u32_e32 v8, 2, v3
	ds_bpermute_b32 v5, v5, v4
	v_add_lshl_u32 v7, v7, v3, 2
	s_wait_dscnt 0x0
	v_add_f32_e32 v5, v4, v5
	s_delay_alu instid0(VALU_DEP_1)
	v_cndmask_b32_e32 v4, v4, v5, vcc_lo
	v_cmp_gt_u32_e32 vcc_lo, 60, v3
	ds_bpermute_b32 v5, v7, v4
	v_cndmask_b32_e64 v7, 0, 4, vcc_lo
	v_cmp_lt_u32_e32 vcc_lo, v8, v6
	v_add_nc_u32_e32 v8, 4, v3
	s_delay_alu instid0(VALU_DEP_3) | instskip(SKIP_2) | instid1(VALU_DEP_1)
	v_add_lshl_u32 v7, v7, v3, 2
	s_wait_dscnt 0x0
	v_add_f32_e32 v5, v4, v5
	v_cndmask_b32_e32 v4, v4, v5, vcc_lo
	v_cmp_gt_u32_e32 vcc_lo, 56, v3
	ds_bpermute_b32 v5, v7, v4
	v_cndmask_b32_e64 v7, 0, 8, vcc_lo
	v_cmp_lt_u32_e32 vcc_lo, v8, v6
	v_add_nc_u32_e32 v8, 8, v3
	s_delay_alu instid0(VALU_DEP_3) | instskip(SKIP_2) | instid1(VALU_DEP_1)
	v_add_lshl_u32 v7, v7, v3, 2
	s_wait_dscnt 0x0
	v_add_f32_e32 v5, v4, v5
	v_cndmask_b32_e32 v4, v4, v5, vcc_lo
	v_cmp_gt_u32_e32 vcc_lo, 48, v3
	ds_bpermute_b32 v5, v7, v4
	v_cndmask_b32_e64 v7, 0, 16, vcc_lo
	v_cmp_lt_u32_e32 vcc_lo, v8, v6
	s_delay_alu instid0(VALU_DEP_2) | instskip(SKIP_2) | instid1(VALU_DEP_1)
	v_add_lshl_u32 v7, v7, v3, 2
	s_wait_dscnt 0x0
	v_add_f32_e32 v5, v4, v5
	v_cndmask_b32_e32 v5, v4, v5, vcc_lo
	ds_bpermute_b32 v4, v7, v5
	v_add_nc_u32_e32 v7, 16, v3
	s_delay_alu instid0(VALU_DEP_1) | instskip(SKIP_2) | instid1(VALU_DEP_1)
	v_cmp_lt_u32_e32 vcc_lo, v7, v6
	s_wait_dscnt 0x0
	v_dual_add_f32 v8, v5, v4 :: v_dual_lshlrev_b32 v4, 2, v3
	v_dual_cndmask_b32 v5, v5, v8, vcc_lo :: v_dual_bitop2_b32 v8, 32, v3 bitop3:0x54
	ds_bpermute_b32 v7, v4, v5 offset:128
	v_cmp_lt_u32_e32 vcc_lo, v8, v6
	s_wait_dscnt 0x0
	v_add_f32_e32 v7, v5, v7
	s_delay_alu instid0(VALU_DEP_1)
	v_cndmask_b32_e32 v5, v5, v7, vcc_lo
	v_cmpx_eq_u32_e32 0, v3
; %bb.7:
	v_lshrrev_b32_e32 v6, 4, v0
	s_delay_alu instid0(VALU_DEP_1)
	v_and_b32_e32 v6, 60, v6
	ds_store_b32 v6, v5
; %bb.8:
	s_or_b32 exec_lo, exec_lo, s3
	s_delay_alu instid0(SALU_CYCLE_1)
	s_mov_b32 s10, exec_lo
	s_wait_storecnt_dscnt 0x0
	s_barrier_signal -1
	s_barrier_wait -1
	v_cmpx_gt_u32_e32 16, v0
	s_cbranch_execz .LBB6_10
; %bb.9:
	ds_load_b32 v5, v4
	v_dual_add_nc_u32 v8, 63, v1 :: v_dual_bitop2_b32 v6, 15, v3 bitop3:0x40
	v_or_b32_e32 v4, 32, v4
	s_delay_alu instid0(VALU_DEP_2) | instskip(NEXT) | instid1(VALU_DEP_3)
	v_cmp_ne_u32_e32 vcc_lo, 15, v6
	v_dual_lshrrev_b32 v8, 6, v8 :: v_dual_add_nc_u32 v11, 2, v6
	v_cmp_gt_u32_e64 s3, 12, v6
	v_add_co_ci_u32_e64 v7, null, 0, v3, vcc_lo
	v_cmp_gt_u32_e32 vcc_lo, 14, v6
	s_delay_alu instid0(VALU_DEP_2)
	v_lshlrev_b32_e32 v7, 2, v7
	v_cndmask_b32_e64 v9, 0, 2, vcc_lo
	s_wait_dscnt 0x0
	ds_bpermute_b32 v7, v7, v5
	v_add_nc_u32_e32 v10, 1, v6
	v_add_lshl_u32 v9, v9, v3, 2
	s_wait_dscnt 0x0
	v_add_f32_e32 v7, v5, v7
	s_delay_alu instid0(VALU_DEP_3) | instskip(SKIP_2) | instid1(VALU_DEP_4)
	v_cmp_lt_u32_e32 vcc_lo, v10, v8
	v_cndmask_b32_e64 v10, 0, 4, s3
	v_cmp_lt_u32_e64 s3, v11, v8
	v_cndmask_b32_e32 v7, v5, v7, vcc_lo
	s_delay_alu instid0(VALU_DEP_3) | instskip(SKIP_3) | instid1(VALU_DEP_1)
	v_add_lshl_u32 v3, v10, v3, 2
	ds_bpermute_b32 v9, v9, v7
	s_wait_dscnt 0x0
	v_add_f32_e32 v9, v7, v9
	v_dual_cndmask_b32 v7, v7, v9, s3 :: v_dual_add_nc_u32 v9, 4, v6
	ds_bpermute_b32 v3, v3, v7
	v_cmp_lt_u32_e64 s3, v9, v8
	s_wait_dscnt 0x0
	v_add_f32_e32 v3, v7, v3
	s_delay_alu instid0(VALU_DEP_1) | instskip(SKIP_3) | instid1(VALU_DEP_1)
	v_cndmask_b32_e64 v3, v7, v3, s3
	ds_bpermute_b32 v4, v4, v3
	s_wait_dscnt 0x0
	v_dual_add_nc_u32 v6, 8, v6 :: v_dual_add_f32 v4, v3, v4
	v_cmp_lt_u32_e64 s3, v6, v8
	s_delay_alu instid0(VALU_DEP_1) | instskip(NEXT) | instid1(VALU_DEP_1)
	v_cndmask_b32_e64 v3, v3, v4, s3
	v_cndmask_b32_e32 v5, v5, v3, vcc_lo
.LBB6_10:
	s_or_b32 exec_lo, exec_lo, s10
	s_delay_alu instid0(SALU_CYCLE_1)
	s_mov_b32 s3, exec_lo
	v_cmpx_eq_u32_e32 0, v0
	s_cbranch_execz .LBB6_12
; %bb.11:
	s_cvt_f32_i32 s10, s11
	s_wait_xcnt 0x0
	s_load_b32 s0, s[0:1], 0x30
	s_delay_alu instid0(SALU_CYCLE_1) | instskip(SKIP_1) | instid1(VALU_DEP_2)
	v_div_scale_f32 v3, null, s10, s10, v5
	v_div_scale_f32 v7, vcc_lo, v5, s10, v5
	v_rcp_f32_e32 v4, v3
	v_nop
	s_delay_alu instid0(TRANS32_DEP_1) | instskip(NEXT) | instid1(VALU_DEP_1)
	v_fma_f32 v6, -v3, v4, 1.0
	v_fmac_f32_e32 v4, v6, v4
	s_delay_alu instid0(VALU_DEP_1) | instskip(NEXT) | instid1(VALU_DEP_1)
	v_mul_f32_e32 v6, v7, v4
	v_fma_f32 v8, -v3, v6, v7
	s_delay_alu instid0(VALU_DEP_1) | instskip(NEXT) | instid1(VALU_DEP_1)
	v_fmac_f32_e32 v6, v8, v4
	v_fma_f32 v3, -v3, v6, v7
	s_delay_alu instid0(VALU_DEP_1) | instskip(NEXT) | instid1(VALU_DEP_1)
	v_div_fmas_f32 v3, v3, v4, v6
	v_div_fixup_f32 v3, v3, s10, v5
	s_wait_kmcnt 0x0
	s_delay_alu instid0(VALU_DEP_1) | instskip(NEXT) | instid1(VALU_DEP_1)
	v_add_f32_e32 v3, s0, v3
	v_mul_f32_e32 v4, 0x4b800000, v3
	v_cmp_gt_f32_e32 vcc_lo, 0x800000, v3
	s_delay_alu instid0(VALU_DEP_2) | instskip(NEXT) | instid1(VALU_DEP_1)
	v_cndmask_b32_e32 v3, v3, v4, vcc_lo
	v_rsq_f32_e32 v3, v3
	v_nop
	s_delay_alu instid0(TRANS32_DEP_1) | instskip(NEXT) | instid1(VALU_DEP_1)
	v_mul_f32_e32 v4, 0x45800000, v3
	v_dual_cndmask_b32 v3, v3, v4 :: v_dual_mov_b32 v4, 0
	ds_store_b32 v4, v3 offset:64
.LBB6_12:
	s_or_b32 exec_lo, exec_lo, s3
	s_wait_dscnt 0x0
	s_barrier_signal -1
	s_barrier_wait -1
	s_wait_xcnt 0x0
	s_and_saveexec_b32 s0, s2
	s_cbranch_execz .LBB6_33
; %bb.13:
	s_wait_kmcnt 0x0
	s_load_b32 s0, s[6:7], 0x0
	v_mul_lo_u32 v9, s11, v2
	s_mov_b32 s2, 0
	s_mov_b32 s3, 0x43e00000
	s_wait_kmcnt 0x0
	v_div_scale_f32 v3, null, s0, s0, 1.0
	v_div_scale_f32 v6, vcc_lo, 1.0, s0, 1.0
	s_delay_alu instid0(VALU_DEP_2)
	v_rcp_f32_e32 v4, v3
	v_xor_b32_e32 v5, 0x80000000, v3
	s_delay_alu instid0(TRANS32_DEP_1) | instid1(VALU_DEP_1)
	v_fma_f32 v3, v5, v4, 1.0
	s_delay_alu instid0(VALU_DEP_1) | instskip(NEXT) | instid1(VALU_DEP_1)
	v_dual_fmac_f32 v4, v3, v4 :: v_dual_mov_b32 v3, 0
	v_mul_f32_e32 v7, v6, v4
	s_delay_alu instid0(VALU_DEP_1) | instskip(NEXT) | instid1(VALU_DEP_1)
	v_fma_f32 v8, v5, v7, v6
	v_fmac_f32_e32 v7, v8, v4
	ds_load_b32 v8, v3 offset:64
	v_fmac_f32_e32 v6, v5, v7
	s_delay_alu instid0(VALU_DEP_1) | instskip(NEXT) | instid1(VALU_DEP_1)
	v_div_fmas_f32 v2, v6, v4, v7
	v_div_fixup_f32 v10, v2, s0, 1.0
	s_branch .LBB6_15
.LBB6_14:                               ;   in Loop: Header=BB6_15 Depth=1
	s_or_b32 exec_lo, exec_lo, s0
	v_dual_mov_b32 v5, v3 :: v_dual_add_nc_u32 v0, v0, v1
	s_delay_alu instid0(VALU_DEP_1) | instskip(NEXT) | instid1(VALU_DEP_2)
	v_add_nc_u64_e32 v[4:5], s[8:9], v[4:5]
	v_cmp_le_i32_e32 vcc_lo, s11, v0
	s_or_b32 s2, vcc_lo, s2
	global_store_b8 v[4:5], v2, off
	s_wait_xcnt 0x0
	s_and_not1_b32 exec_lo, exec_lo, s2
	s_cbranch_execz .LBB6_33
.LBB6_15:                               ; =>This Inner Loop Header: Depth=1
	v_add_nc_u32_e32 v4, v9, v0
	global_load_b32 v2, v4, s[12:13] scale_offset
	global_load_b32 v5, v0, s[4:5] scale_offset
	s_wait_loadcnt_dscnt 0x100
	v_mul_f32_e32 v2, v2, v8
	s_wait_loadcnt 0x0
	s_delay_alu instid0(VALU_DEP_1) | instskip(NEXT) | instid1(VALU_DEP_1)
	v_mul_f32_e32 v2, v2, v5
	v_mul_f32_e32 v2, v10, v2
	s_delay_alu instid0(VALU_DEP_1) | instskip(NEXT) | instid1(VALU_DEP_1)
	v_minmax_num_f32 v6, v2, s3, 0xc3e00000
	v_and_b32_e32 v2, 0x7f800000, v6
	v_lshrrev_b32_e32 v5, 24, v6
	s_delay_alu instid0(VALU_DEP_2) | instskip(SKIP_2) | instid1(SALU_CYCLE_1)
	v_cmp_ne_u64_e32 vcc_lo, 0x7f800000, v[2:3]
                                        ; implicit-def: $vgpr2
	s_wait_xcnt 0x0
	s_and_saveexec_b32 s0, vcc_lo
	s_xor_b32 s6, exec_lo, s0
	s_cbranch_execz .LBB6_31
; %bb.16:                               ;   in Loop: Header=BB6_15 Depth=1
	v_and_b32_e32 v2, 0x7fffffff, v6
	v_and_b32_e32 v5, 0x80, v5
	s_delay_alu instid0(VALU_DEP_2) | instskip(SKIP_1) | instid1(SALU_CYCLE_1)
	v_cmp_gt_u64_e32 vcc_lo, 0x43e00001, v[2:3]
                                        ; implicit-def: $vgpr2
	s_and_saveexec_b32 s0, vcc_lo
	s_xor_b32 s7, exec_lo, s0
	s_cbranch_execz .LBB6_28
; %bb.17:                               ;   in Loop: Header=BB6_15 Depth=1
	v_mov_b32_e32 v2, 0
	s_mov_b32 s10, exec_lo
	v_cmpx_ne_u32_e32 0, v6
	s_cbranch_execz .LBB6_27
; %bb.18:                               ;   in Loop: Header=BB6_15 Depth=1
	v_bfe_u32 v11, v6, 23, 8
	v_and_b32_e32 v6, 0x7fffff, v6
	s_delay_alu instid0(VALU_DEP_2) | instskip(SKIP_2) | instid1(VALU_DEP_3)
	v_sub_nc_u32_e64 v2, 0x79, v11 clamp
	v_cmp_eq_u32_e32 vcc_lo, 0, v11
	v_add_nc_u32_e32 v11, 0xffffff88, v11
	v_cndmask_b32_e64 v16, v2, 0x78, vcc_lo
	v_or_b32_e32 v2, 0x800000, v6
	s_delay_alu instid0(VALU_DEP_1) | instskip(NEXT) | instid1(VALU_DEP_1)
	v_dual_cndmask_b32 v2, v2, v6 :: v_dual_add_nc_u32 v7, 20, v16
	v_lshlrev_b64_e64 v[6:7], v7, -1
	s_delay_alu instid0(VALU_DEP_2) | instskip(SKIP_1) | instid1(VALU_DEP_1)
	v_lshrrev_b64 v[14:15], v16, v[2:3]
	v_add_nc_u32_e32 v12, 19, v16
	v_lshlrev_b64_e64 v[12:13], v12, 1
	s_delay_alu instid0(VALU_DEP_4) | instskip(SKIP_2) | instid1(VALU_DEP_2)
	v_bfi_b32 v7, v7, 0, 0
	v_bfi_b32 v6, v6, 0, v2
	v_and_b32_e32 v2, 0x100000, v14
	v_cmp_eq_u64_e64 s0, v[6:7], v[12:13]
	s_delay_alu instid0(VALU_DEP_2) | instskip(SKIP_3) | instid1(VALU_DEP_1)
	v_cmp_eq_u64_e64 s1, 0, v[2:3]
	v_cndmask_b32_e64 v2, v11, 0xffffff89, vcc_lo
	v_lshrrev_b32_e32 v6, 23, v14
                                        ; implicit-def: $vgpr11
	s_and_b32 vcc_lo, s1, s0
	v_add3_u32 v12, v2, v16, v6
	v_subrev_co_ci_u32_e64 v7, null, 0, v14, vcc_lo
	s_mov_b32 s0, exec_lo
	v_and_b32_e32 v2, 0xfffff, v7
	v_add_nc_u32_e32 v13, -1, v12
                                        ; implicit-def: $vgpr6_vgpr7
	s_delay_alu instid0(VALU_DEP_2) | instskip(NEXT) | instid1(VALU_DEP_2)
	v_add_nc_u32_e32 v2, v2, v14
	v_cmpx_ne_u32_e32 0, v13
	s_xor_b32 s0, exec_lo, s0
	s_cbranch_execz .LBB6_20
; %bb.19:                               ;   in Loop: Header=BB6_15 Depth=1
	s_delay_alu instid0(VALU_DEP_2) | instskip(SKIP_2) | instid1(VALU_DEP_2)
	v_and_b32_e32 v14, 0x1000000, v2
	v_mov_b32_e32 v15, v3
	v_bfe_u32 v6, v2, 24, 1
	v_cmp_eq_u64_e32 vcc_lo, 0, v[14:15]
	s_delay_alu instid0(VALU_DEP_2)
	v_lshrrev_b64 v[6:7], v6, v[2:3]
	v_cndmask_b32_e32 v11, v12, v13, vcc_lo
.LBB6_20:                               ;   in Loop: Header=BB6_15 Depth=1
	s_and_not1_saveexec_b32 s0, s0
; %bb.21:                               ;   in Loop: Header=BB6_15 Depth=1
	v_mov_b64_e32 v[6:7], v[2:3]
	v_bfe_u32 v11, v2, 23, 1
; %bb.22:                               ;   in Loop: Header=BB6_15 Depth=1
	s_or_b32 exec_lo, exec_lo, s0
	s_delay_alu instid0(VALU_DEP_2) | instskip(NEXT) | instid1(VALU_DEP_2)
	v_lshrrev_b64 v[6:7], 20, v[6:7]
	v_cmp_gt_i32_e32 vcc_lo, 16, v11
	v_cmp_ne_u32_e64 s0, 0, v11
                                        ; implicit-def: $vgpr2
	s_delay_alu instid0(VALU_DEP_3) | instskip(NEXT) | instid1(VALU_DEP_1)
	v_dual_cndmask_b32 v7, 0, v7 :: v_dual_cndmask_b32 v6, 7, v6
	v_cmp_ne_u64_e32 vcc_lo, 0, v[6:7]
	s_or_b32 s0, s0, vcc_lo
	s_delay_alu instid0(SALU_CYCLE_1) | instskip(NEXT) | instid1(SALU_CYCLE_1)
	s_and_saveexec_b32 s1, s0
	s_xor_b32 s0, exec_lo, s1
; %bb.23:                               ;   in Loop: Header=BB6_15 Depth=1
	v_min_i32_e32 v2, 15, v11
	s_delay_alu instid0(VALU_DEP_1) | instskip(NEXT) | instid1(VALU_DEP_1)
	v_lshl_or_b32 v2, v2, 3, v5
                                        ; implicit-def: $vgpr5
	v_and_or_b32 v2, v6, 7, v2
; %bb.24:                               ;   in Loop: Header=BB6_15 Depth=1
	s_and_not1_saveexec_b32 s0, s0
; %bb.25:                               ;   in Loop: Header=BB6_15 Depth=1
	v_mov_b32_e32 v2, v5
; %bb.26:                               ;   in Loop: Header=BB6_15 Depth=1
	s_or_b32 exec_lo, exec_lo, s0
.LBB6_27:                               ;   in Loop: Header=BB6_15 Depth=1
	s_delay_alu instid0(SALU_CYCLE_1)
	s_or_b32 exec_lo, exec_lo, s10
                                        ; implicit-def: $vgpr5
.LBB6_28:                               ;   in Loop: Header=BB6_15 Depth=1
	s_and_not1_saveexec_b32 s0, s7
; %bb.29:                               ;   in Loop: Header=BB6_15 Depth=1
	v_or_b32_e32 v2, 0x7e, v5
; %bb.30:                               ;   in Loop: Header=BB6_15 Depth=1
	s_or_b32 exec_lo, exec_lo, s0
                                        ; implicit-def: $vgpr5
.LBB6_31:                               ;   in Loop: Header=BB6_15 Depth=1
	s_and_not1_saveexec_b32 s0, s6
	s_cbranch_execz .LBB6_14
; %bb.32:                               ;   in Loop: Header=BB6_15 Depth=1
	v_or_b32_e32 v2, 0x7f, v5
	s_branch .LBB6_14
.LBB6_33:
	s_endpgm
	.section	.rodata,"a",@progbits
	.p2align	6, 0x0
	.amdhsa_kernel _ZN4vllm42fused_add_rms_norm_static_fp8_quant_kernelIfLi8EN3c1013Float8_e4m3fnEEENSt9enable_ifIXooeqT0_Li0Entsr12_typeConvertIT_EE6existsEvE4typeEPT1_PS4_iS9_PKS4_PKffii
		.amdhsa_group_segment_fixed_size 68
		.amdhsa_private_segment_fixed_size 0
		.amdhsa_kernarg_size 320
		.amdhsa_user_sgpr_count 2
		.amdhsa_user_sgpr_dispatch_ptr 0
		.amdhsa_user_sgpr_queue_ptr 0
		.amdhsa_user_sgpr_kernarg_segment_ptr 1
		.amdhsa_user_sgpr_dispatch_id 0
		.amdhsa_user_sgpr_kernarg_preload_length 0
		.amdhsa_user_sgpr_kernarg_preload_offset 0
		.amdhsa_user_sgpr_private_segment_size 0
		.amdhsa_wavefront_size32 1
		.amdhsa_uses_dynamic_stack 0
		.amdhsa_enable_private_segment 0
		.amdhsa_system_sgpr_workgroup_id_x 1
		.amdhsa_system_sgpr_workgroup_id_y 0
		.amdhsa_system_sgpr_workgroup_id_z 0
		.amdhsa_system_sgpr_workgroup_info 0
		.amdhsa_system_vgpr_workitem_id 0
		.amdhsa_next_free_vgpr 17
		.amdhsa_next_free_sgpr 19
		.amdhsa_named_barrier_count 0
		.amdhsa_reserve_vcc 1
		.amdhsa_float_round_mode_32 0
		.amdhsa_float_round_mode_16_64 0
		.amdhsa_float_denorm_mode_32 3
		.amdhsa_float_denorm_mode_16_64 3
		.amdhsa_fp16_overflow 0
		.amdhsa_memory_ordered 1
		.amdhsa_forward_progress 1
		.amdhsa_inst_pref_size 16
		.amdhsa_round_robin_scheduling 0
		.amdhsa_exception_fp_ieee_invalid_op 0
		.amdhsa_exception_fp_denorm_src 0
		.amdhsa_exception_fp_ieee_div_zero 0
		.amdhsa_exception_fp_ieee_overflow 0
		.amdhsa_exception_fp_ieee_underflow 0
		.amdhsa_exception_fp_ieee_inexact 0
		.amdhsa_exception_int_div_zero 0
	.end_amdhsa_kernel
	.section	.text._ZN4vllm42fused_add_rms_norm_static_fp8_quant_kernelIfLi8EN3c1013Float8_e4m3fnEEENSt9enable_ifIXooeqT0_Li0Entsr12_typeConvertIT_EE6existsEvE4typeEPT1_PS4_iS9_PKS4_PKffii,"axG",@progbits,_ZN4vllm42fused_add_rms_norm_static_fp8_quant_kernelIfLi8EN3c1013Float8_e4m3fnEEENSt9enable_ifIXooeqT0_Li0Entsr12_typeConvertIT_EE6existsEvE4typeEPT1_PS4_iS9_PKS4_PKffii,comdat
.Lfunc_end6:
	.size	_ZN4vllm42fused_add_rms_norm_static_fp8_quant_kernelIfLi8EN3c1013Float8_e4m3fnEEENSt9enable_ifIXooeqT0_Li0Entsr12_typeConvertIT_EE6existsEvE4typeEPT1_PS4_iS9_PKS4_PKffii, .Lfunc_end6-_ZN4vllm42fused_add_rms_norm_static_fp8_quant_kernelIfLi8EN3c1013Float8_e4m3fnEEENSt9enable_ifIXooeqT0_Li0Entsr12_typeConvertIT_EE6existsEvE4typeEPT1_PS4_iS9_PKS4_PKffii
                                        ; -- End function
	.set _ZN4vllm42fused_add_rms_norm_static_fp8_quant_kernelIfLi8EN3c1013Float8_e4m3fnEEENSt9enable_ifIXooeqT0_Li0Entsr12_typeConvertIT_EE6existsEvE4typeEPT1_PS4_iS9_PKS4_PKffii.num_vgpr, 17
	.set _ZN4vllm42fused_add_rms_norm_static_fp8_quant_kernelIfLi8EN3c1013Float8_e4m3fnEEENSt9enable_ifIXooeqT0_Li0Entsr12_typeConvertIT_EE6existsEvE4typeEPT1_PS4_iS9_PKS4_PKffii.num_agpr, 0
	.set _ZN4vllm42fused_add_rms_norm_static_fp8_quant_kernelIfLi8EN3c1013Float8_e4m3fnEEENSt9enable_ifIXooeqT0_Li0Entsr12_typeConvertIT_EE6existsEvE4typeEPT1_PS4_iS9_PKS4_PKffii.numbered_sgpr, 19
	.set _ZN4vllm42fused_add_rms_norm_static_fp8_quant_kernelIfLi8EN3c1013Float8_e4m3fnEEENSt9enable_ifIXooeqT0_Li0Entsr12_typeConvertIT_EE6existsEvE4typeEPT1_PS4_iS9_PKS4_PKffii.num_named_barrier, 0
	.set _ZN4vllm42fused_add_rms_norm_static_fp8_quant_kernelIfLi8EN3c1013Float8_e4m3fnEEENSt9enable_ifIXooeqT0_Li0Entsr12_typeConvertIT_EE6existsEvE4typeEPT1_PS4_iS9_PKS4_PKffii.private_seg_size, 0
	.set _ZN4vllm42fused_add_rms_norm_static_fp8_quant_kernelIfLi8EN3c1013Float8_e4m3fnEEENSt9enable_ifIXooeqT0_Li0Entsr12_typeConvertIT_EE6existsEvE4typeEPT1_PS4_iS9_PKS4_PKffii.uses_vcc, 1
	.set _ZN4vllm42fused_add_rms_norm_static_fp8_quant_kernelIfLi8EN3c1013Float8_e4m3fnEEENSt9enable_ifIXooeqT0_Li0Entsr12_typeConvertIT_EE6existsEvE4typeEPT1_PS4_iS9_PKS4_PKffii.uses_flat_scratch, 0
	.set _ZN4vllm42fused_add_rms_norm_static_fp8_quant_kernelIfLi8EN3c1013Float8_e4m3fnEEENSt9enable_ifIXooeqT0_Li0Entsr12_typeConvertIT_EE6existsEvE4typeEPT1_PS4_iS9_PKS4_PKffii.has_dyn_sized_stack, 0
	.set _ZN4vllm42fused_add_rms_norm_static_fp8_quant_kernelIfLi8EN3c1013Float8_e4m3fnEEENSt9enable_ifIXooeqT0_Li0Entsr12_typeConvertIT_EE6existsEvE4typeEPT1_PS4_iS9_PKS4_PKffii.has_recursion, 0
	.set _ZN4vllm42fused_add_rms_norm_static_fp8_quant_kernelIfLi8EN3c1013Float8_e4m3fnEEENSt9enable_ifIXooeqT0_Li0Entsr12_typeConvertIT_EE6existsEvE4typeEPT1_PS4_iS9_PKS4_PKffii.has_indirect_call, 0
	.section	.AMDGPU.csdata,"",@progbits
; Kernel info:
; codeLenInByte = 2036
; TotalNumSgprs: 21
; NumVgprs: 17
; ScratchSize: 0
; MemoryBound: 0
; FloatMode: 240
; IeeeMode: 1
; LDSByteSize: 68 bytes/workgroup (compile time only)
; SGPRBlocks: 0
; VGPRBlocks: 1
; NumSGPRsForWavesPerEU: 21
; NumVGPRsForWavesPerEU: 17
; NamedBarCnt: 0
; Occupancy: 16
; WaveLimiterHint : 0
; COMPUTE_PGM_RSRC2:SCRATCH_EN: 0
; COMPUTE_PGM_RSRC2:USER_SGPR: 2
; COMPUTE_PGM_RSRC2:TRAP_HANDLER: 0
; COMPUTE_PGM_RSRC2:TGID_X_EN: 1
; COMPUTE_PGM_RSRC2:TGID_Y_EN: 0
; COMPUTE_PGM_RSRC2:TGID_Z_EN: 0
; COMPUTE_PGM_RSRC2:TIDIG_COMP_CNT: 0
	.section	.text._ZN4vllm42fused_add_rms_norm_static_fp8_quant_kernelIfLi8EN3c1015Float8_e4m3fnuzEEENSt9enable_ifIXooeqT0_Li0Entsr12_typeConvertIT_EE6existsEvE4typeEPT1_PS4_iS9_PKS4_PKffii,"axG",@progbits,_ZN4vllm42fused_add_rms_norm_static_fp8_quant_kernelIfLi8EN3c1015Float8_e4m3fnuzEEENSt9enable_ifIXooeqT0_Li0Entsr12_typeConvertIT_EE6existsEvE4typeEPT1_PS4_iS9_PKS4_PKffii,comdat
	.protected	_ZN4vllm42fused_add_rms_norm_static_fp8_quant_kernelIfLi8EN3c1015Float8_e4m3fnuzEEENSt9enable_ifIXooeqT0_Li0Entsr12_typeConvertIT_EE6existsEvE4typeEPT1_PS4_iS9_PKS4_PKffii ; -- Begin function _ZN4vllm42fused_add_rms_norm_static_fp8_quant_kernelIfLi8EN3c1015Float8_e4m3fnuzEEENSt9enable_ifIXooeqT0_Li0Entsr12_typeConvertIT_EE6existsEvE4typeEPT1_PS4_iS9_PKS4_PKffii
	.globl	_ZN4vllm42fused_add_rms_norm_static_fp8_quant_kernelIfLi8EN3c1015Float8_e4m3fnuzEEENSt9enable_ifIXooeqT0_Li0Entsr12_typeConvertIT_EE6existsEvE4typeEPT1_PS4_iS9_PKS4_PKffii
	.p2align	8
	.type	_ZN4vllm42fused_add_rms_norm_static_fp8_quant_kernelIfLi8EN3c1015Float8_e4m3fnuzEEENSt9enable_ifIXooeqT0_Li0Entsr12_typeConvertIT_EE6existsEvE4typeEPT1_PS4_iS9_PKS4_PKffii,@function
_ZN4vllm42fused_add_rms_norm_static_fp8_quant_kernelIfLi8EN3c1015Float8_e4m3fnuzEEENSt9enable_ifIXooeqT0_Li0Entsr12_typeConvertIT_EE6existsEvE4typeEPT1_PS4_iS9_PKS4_PKffii: ; @_ZN4vllm42fused_add_rms_norm_static_fp8_quant_kernelIfLi8EN3c1015Float8_e4m3fnuzEEENSt9enable_ifIXooeqT0_Li0Entsr12_typeConvertIT_EE6existsEvE4typeEPT1_PS4_iS9_PKS4_PKffii
; %bb.0:
	s_clause 0x1
	s_load_b32 s11, s[0:1], 0x38
	s_load_b64 s[12:13], s[0:1], 0x18
	s_getreg_b32 s14, hwreg(HW_REG_IB_STS2, 6, 4)
	s_mov_b32 s3, exec_lo
                                        ; implicit-def: $sgpr8
                                        ; implicit-def: $sgpr9
	s_wait_kmcnt 0x0
	v_cmp_gt_i32_e64 s2, s11, v0
	v_cmpx_le_i32_e64 s11, v0
	s_xor_b32 s3, exec_lo, s3
	s_cbranch_execz .LBB7_2
; %bb.1:
	s_load_b32 s4, s[0:1], 0x4c
	s_bfe_u32 s5, ttmp6, 0x4000c
	s_and_b32 s6, ttmp6, 15
	s_add_co_i32 s5, s5, 1
	s_delay_alu instid0(SALU_CYCLE_1) | instskip(NEXT) | instid1(SALU_CYCLE_1)
	s_mul_i32 s5, ttmp9, s5
	s_add_co_i32 s6, s6, s5
	s_cmp_eq_u32 s14, 0
	s_cselect_b32 s8, ttmp9, s6
	s_wait_kmcnt 0x0
	s_and_b32 s9, s4, 0xffff
.LBB7_2:
	s_or_saveexec_b32 s3, s3
	s_load_b128 s[4:7], s[0:1], 0x20
	v_dual_mov_b32 v4, 0 :: v_dual_mov_b32 v2, s8
	v_mov_b32_e32 v1, s9
	s_xor_b32 exec_lo, exec_lo, s3
	s_cbranch_execz .LBB7_6
; %bb.3:
	s_clause 0x1
	s_load_b96 s[8:10], s[0:1], 0x8
	s_load_b32 s18, s[0:1], 0x4c
	s_bfe_u32 s15, ttmp6, 0x4000c
	s_and_b32 s16, ttmp6, 15
	s_add_co_i32 s15, s15, 1
	v_dual_mov_b32 v4, 0 :: v_dual_mov_b32 v1, v0
	s_mul_i32 s17, ttmp9, s15
	s_mov_b32 s15, 0
	s_add_co_i32 s16, s16, s17
	s_cmp_eq_u32 s14, 0
	s_cselect_b32 s14, ttmp9, s16
	s_delay_alu instid0(SALU_CYCLE_1)
	s_mul_i32 s16, s11, s14
	s_wait_kmcnt 0x0
	s_mul_i32 s17, s10, s14
	s_and_b32 s10, s18, 0xffff
.LBB7_4:                                ; =>This Inner Loop Header: Depth=1
	v_dual_add_nc_u32 v2, s17, v1 :: v_dual_add_nc_u32 v3, s16, v1
	global_load_b32 v5, v2, s[8:9] scale_offset
	global_load_b32 v6, v3, s[12:13] scale_offset
	s_wait_loadcnt 0x0
	s_wait_xcnt 0x1
	v_dual_add_f32 v2, v5, v6 :: v_dual_add_nc_u32 v1, s10, v1
	s_delay_alu instid0(VALU_DEP_1) | instskip(NEXT) | instid1(VALU_DEP_2)
	v_cmp_le_i32_e32 vcc_lo, s11, v1
	v_fmac_f32_e32 v4, v2, v2
	s_or_b32 s15, vcc_lo, s15
	global_store_b32 v3, v2, s[12:13] scale_offset
	s_wait_xcnt 0x0
	s_and_not1_b32 exec_lo, exec_lo, s15
	s_cbranch_execnz .LBB7_4
; %bb.5:
	s_or_b32 exec_lo, exec_lo, s15
	v_dual_mov_b32 v2, s14 :: v_dual_mov_b32 v1, s10
.LBB7_6:
	s_or_b32 exec_lo, exec_lo, s3
	v_mbcnt_lo_u32_b32 v3, -1, 0
	v_and_b32_e32 v6, 0x3c0, v0
	s_load_b64 s[8:9], s[0:1], 0x0
	s_mov_b32 s3, exec_lo
	s_delay_alu instid0(VALU_DEP_2) | instskip(NEXT) | instid1(VALU_DEP_2)
	v_cmp_ne_u32_e32 vcc_lo, 63, v3
	v_sub_nc_u32_e64 v6, v1, v6 clamp
	v_add_nc_u32_e32 v8, 1, v3
	v_add_co_ci_u32_e64 v5, null, 0, v3, vcc_lo
	v_cmp_gt_u32_e32 vcc_lo, 62, v3
	s_delay_alu instid0(VALU_DEP_2)
	v_lshlrev_b32_e32 v5, 2, v5
	v_cndmask_b32_e64 v7, 0, 2, vcc_lo
	v_cmp_lt_u32_e32 vcc_lo, v8, v6
	v_add_nc_u32_e32 v8, 2, v3
	ds_bpermute_b32 v5, v5, v4
	v_add_lshl_u32 v7, v7, v3, 2
	s_wait_dscnt 0x0
	v_add_f32_e32 v5, v4, v5
	s_delay_alu instid0(VALU_DEP_1)
	v_cndmask_b32_e32 v4, v4, v5, vcc_lo
	v_cmp_gt_u32_e32 vcc_lo, 60, v3
	ds_bpermute_b32 v5, v7, v4
	v_cndmask_b32_e64 v7, 0, 4, vcc_lo
	v_cmp_lt_u32_e32 vcc_lo, v8, v6
	v_add_nc_u32_e32 v8, 4, v3
	s_delay_alu instid0(VALU_DEP_3) | instskip(SKIP_2) | instid1(VALU_DEP_1)
	v_add_lshl_u32 v7, v7, v3, 2
	s_wait_dscnt 0x0
	v_add_f32_e32 v5, v4, v5
	v_cndmask_b32_e32 v4, v4, v5, vcc_lo
	v_cmp_gt_u32_e32 vcc_lo, 56, v3
	ds_bpermute_b32 v5, v7, v4
	v_cndmask_b32_e64 v7, 0, 8, vcc_lo
	v_cmp_lt_u32_e32 vcc_lo, v8, v6
	v_add_nc_u32_e32 v8, 8, v3
	s_delay_alu instid0(VALU_DEP_3) | instskip(SKIP_2) | instid1(VALU_DEP_1)
	v_add_lshl_u32 v7, v7, v3, 2
	s_wait_dscnt 0x0
	v_add_f32_e32 v5, v4, v5
	v_cndmask_b32_e32 v4, v4, v5, vcc_lo
	v_cmp_gt_u32_e32 vcc_lo, 48, v3
	ds_bpermute_b32 v5, v7, v4
	v_cndmask_b32_e64 v7, 0, 16, vcc_lo
	v_cmp_lt_u32_e32 vcc_lo, v8, v6
	s_delay_alu instid0(VALU_DEP_2) | instskip(SKIP_2) | instid1(VALU_DEP_1)
	v_add_lshl_u32 v7, v7, v3, 2
	s_wait_dscnt 0x0
	v_add_f32_e32 v5, v4, v5
	v_cndmask_b32_e32 v5, v4, v5, vcc_lo
	ds_bpermute_b32 v4, v7, v5
	v_add_nc_u32_e32 v7, 16, v3
	s_delay_alu instid0(VALU_DEP_1) | instskip(SKIP_2) | instid1(VALU_DEP_1)
	v_cmp_lt_u32_e32 vcc_lo, v7, v6
	s_wait_dscnt 0x0
	v_dual_add_f32 v8, v5, v4 :: v_dual_lshlrev_b32 v4, 2, v3
	v_dual_cndmask_b32 v5, v5, v8, vcc_lo :: v_dual_bitop2_b32 v8, 32, v3 bitop3:0x54
	ds_bpermute_b32 v7, v4, v5 offset:128
	v_cmp_lt_u32_e32 vcc_lo, v8, v6
	s_wait_dscnt 0x0
	v_add_f32_e32 v7, v5, v7
	s_delay_alu instid0(VALU_DEP_1)
	v_cndmask_b32_e32 v5, v5, v7, vcc_lo
	v_cmpx_eq_u32_e32 0, v3
; %bb.7:
	v_lshrrev_b32_e32 v6, 4, v0
	s_delay_alu instid0(VALU_DEP_1)
	v_and_b32_e32 v6, 60, v6
	ds_store_b32 v6, v5
; %bb.8:
	s_or_b32 exec_lo, exec_lo, s3
	s_delay_alu instid0(SALU_CYCLE_1)
	s_mov_b32 s10, exec_lo
	s_wait_storecnt_dscnt 0x0
	s_barrier_signal -1
	s_barrier_wait -1
	v_cmpx_gt_u32_e32 16, v0
	s_cbranch_execz .LBB7_10
; %bb.9:
	ds_load_b32 v5, v4
	v_dual_add_nc_u32 v8, 63, v1 :: v_dual_bitop2_b32 v6, 15, v3 bitop3:0x40
	v_or_b32_e32 v4, 32, v4
	s_delay_alu instid0(VALU_DEP_2) | instskip(NEXT) | instid1(VALU_DEP_3)
	v_cmp_ne_u32_e32 vcc_lo, 15, v6
	v_dual_lshrrev_b32 v8, 6, v8 :: v_dual_add_nc_u32 v11, 2, v6
	v_cmp_gt_u32_e64 s3, 12, v6
	v_add_co_ci_u32_e64 v7, null, 0, v3, vcc_lo
	v_cmp_gt_u32_e32 vcc_lo, 14, v6
	s_delay_alu instid0(VALU_DEP_2)
	v_lshlrev_b32_e32 v7, 2, v7
	v_cndmask_b32_e64 v9, 0, 2, vcc_lo
	s_wait_dscnt 0x0
	ds_bpermute_b32 v7, v7, v5
	v_add_nc_u32_e32 v10, 1, v6
	v_add_lshl_u32 v9, v9, v3, 2
	s_wait_dscnt 0x0
	v_add_f32_e32 v7, v5, v7
	s_delay_alu instid0(VALU_DEP_3) | instskip(SKIP_2) | instid1(VALU_DEP_4)
	v_cmp_lt_u32_e32 vcc_lo, v10, v8
	v_cndmask_b32_e64 v10, 0, 4, s3
	v_cmp_lt_u32_e64 s3, v11, v8
	v_cndmask_b32_e32 v7, v5, v7, vcc_lo
	s_delay_alu instid0(VALU_DEP_3) | instskip(SKIP_3) | instid1(VALU_DEP_1)
	v_add_lshl_u32 v3, v10, v3, 2
	ds_bpermute_b32 v9, v9, v7
	s_wait_dscnt 0x0
	v_add_f32_e32 v9, v7, v9
	v_dual_cndmask_b32 v7, v7, v9, s3 :: v_dual_add_nc_u32 v9, 4, v6
	ds_bpermute_b32 v3, v3, v7
	v_cmp_lt_u32_e64 s3, v9, v8
	s_wait_dscnt 0x0
	v_add_f32_e32 v3, v7, v3
	s_delay_alu instid0(VALU_DEP_1) | instskip(SKIP_3) | instid1(VALU_DEP_1)
	v_cndmask_b32_e64 v3, v7, v3, s3
	ds_bpermute_b32 v4, v4, v3
	s_wait_dscnt 0x0
	v_dual_add_nc_u32 v6, 8, v6 :: v_dual_add_f32 v4, v3, v4
	v_cmp_lt_u32_e64 s3, v6, v8
	s_delay_alu instid0(VALU_DEP_1) | instskip(NEXT) | instid1(VALU_DEP_1)
	v_cndmask_b32_e64 v3, v3, v4, s3
	v_cndmask_b32_e32 v5, v5, v3, vcc_lo
.LBB7_10:
	s_or_b32 exec_lo, exec_lo, s10
	s_delay_alu instid0(SALU_CYCLE_1)
	s_mov_b32 s3, exec_lo
	v_cmpx_eq_u32_e32 0, v0
	s_cbranch_execz .LBB7_12
; %bb.11:
	s_cvt_f32_i32 s10, s11
	s_wait_xcnt 0x0
	s_load_b32 s0, s[0:1], 0x30
	s_delay_alu instid0(SALU_CYCLE_1) | instskip(SKIP_1) | instid1(VALU_DEP_2)
	v_div_scale_f32 v3, null, s10, s10, v5
	v_div_scale_f32 v7, vcc_lo, v5, s10, v5
	v_rcp_f32_e32 v4, v3
	v_nop
	s_delay_alu instid0(TRANS32_DEP_1) | instskip(NEXT) | instid1(VALU_DEP_1)
	v_fma_f32 v6, -v3, v4, 1.0
	v_fmac_f32_e32 v4, v6, v4
	s_delay_alu instid0(VALU_DEP_1) | instskip(NEXT) | instid1(VALU_DEP_1)
	v_mul_f32_e32 v6, v7, v4
	v_fma_f32 v8, -v3, v6, v7
	s_delay_alu instid0(VALU_DEP_1) | instskip(NEXT) | instid1(VALU_DEP_1)
	v_fmac_f32_e32 v6, v8, v4
	v_fma_f32 v3, -v3, v6, v7
	s_delay_alu instid0(VALU_DEP_1) | instskip(NEXT) | instid1(VALU_DEP_1)
	v_div_fmas_f32 v3, v3, v4, v6
	v_div_fixup_f32 v3, v3, s10, v5
	s_wait_kmcnt 0x0
	s_delay_alu instid0(VALU_DEP_1) | instskip(NEXT) | instid1(VALU_DEP_1)
	v_add_f32_e32 v3, s0, v3
	v_mul_f32_e32 v4, 0x4b800000, v3
	v_cmp_gt_f32_e32 vcc_lo, 0x800000, v3
	s_delay_alu instid0(VALU_DEP_2) | instskip(NEXT) | instid1(VALU_DEP_1)
	v_cndmask_b32_e32 v3, v3, v4, vcc_lo
	v_rsq_f32_e32 v3, v3
	v_nop
	s_delay_alu instid0(TRANS32_DEP_1) | instskip(NEXT) | instid1(VALU_DEP_1)
	v_mul_f32_e32 v4, 0x45800000, v3
	v_dual_cndmask_b32 v3, v3, v4 :: v_dual_mov_b32 v4, 0
	ds_store_b32 v4, v3 offset:64
.LBB7_12:
	s_or_b32 exec_lo, exec_lo, s3
	s_wait_dscnt 0x0
	s_barrier_signal -1
	s_barrier_wait -1
	s_wait_xcnt 0x0
	s_and_saveexec_b32 s0, s2
	s_cbranch_execz .LBB7_27
; %bb.13:
	s_wait_kmcnt 0x0
	s_load_b32 s0, s[6:7], 0x0
	v_mul_lo_u32 v9, s11, v2
	s_mov_b32 s2, 0
	s_mov_b32 s3, 0x43600000
	s_wait_kmcnt 0x0
	v_div_scale_f32 v3, null, s0, s0, 1.0
	v_div_scale_f32 v6, vcc_lo, 1.0, s0, 1.0
	s_delay_alu instid0(VALU_DEP_2)
	v_rcp_f32_e32 v4, v3
	v_xor_b32_e32 v5, 0x80000000, v3
	s_delay_alu instid0(TRANS32_DEP_1) | instid1(VALU_DEP_1)
	v_fma_f32 v3, v5, v4, 1.0
	s_delay_alu instid0(VALU_DEP_1) | instskip(NEXT) | instid1(VALU_DEP_1)
	v_dual_fmac_f32 v4, v3, v4 :: v_dual_mov_b32 v3, 0
	v_mul_f32_e32 v7, v6, v4
	s_delay_alu instid0(VALU_DEP_1) | instskip(NEXT) | instid1(VALU_DEP_1)
	v_fma_f32 v8, v5, v7, v6
	v_fmac_f32_e32 v7, v8, v4
	ds_load_b32 v8, v3 offset:64
	v_fmac_f32_e32 v6, v5, v7
	s_delay_alu instid0(VALU_DEP_1) | instskip(NEXT) | instid1(VALU_DEP_1)
	v_div_fmas_f32 v2, v6, v4, v7
	v_div_fixup_f32 v10, v2, s0, 1.0
	s_branch .LBB7_16
.LBB7_14:                               ;   in Loop: Header=BB7_16 Depth=1
	s_or_b32 exec_lo, exec_lo, s0
.LBB7_15:                               ;   in Loop: Header=BB7_16 Depth=1
	s_delay_alu instid0(SALU_CYCLE_1) | instskip(SKIP_1) | instid1(VALU_DEP_1)
	s_or_b32 exec_lo, exec_lo, s6
	v_dual_mov_b32 v5, v3 :: v_dual_add_nc_u32 v0, v0, v1
	v_add_nc_u64_e32 v[4:5], s[8:9], v[4:5]
	s_delay_alu instid0(VALU_DEP_2)
	v_cmp_le_i32_e32 vcc_lo, s11, v0
	s_or_b32 s2, vcc_lo, s2
	global_store_b8 v[4:5], v2, off
	s_wait_xcnt 0x0
	s_and_not1_b32 exec_lo, exec_lo, s2
	s_cbranch_execz .LBB7_27
.LBB7_16:                               ; =>This Inner Loop Header: Depth=1
	v_add_nc_u32_e32 v4, v9, v0
	global_load_b32 v2, v4, s[12:13] scale_offset
	global_load_b32 v5, v0, s[4:5] scale_offset
	s_wait_loadcnt_dscnt 0x100
	v_mul_f32_e32 v2, v2, v8
	s_wait_loadcnt 0x0
	s_delay_alu instid0(VALU_DEP_1) | instskip(NEXT) | instid1(VALU_DEP_1)
	v_mul_f32_e32 v2, v2, v5
	v_mul_f32_e32 v2, v10, v2
	s_delay_alu instid0(VALU_DEP_1) | instskip(NEXT) | instid1(VALU_DEP_1)
	v_minmax_num_f32 v5, v2, s3, 0xc3600000
	v_and_b32_e32 v2, 0x7f800000, v5
	s_delay_alu instid0(VALU_DEP_1)
	v_cmp_ne_u64_e32 vcc_lo, 0x7f800000, v[2:3]
	v_mov_b32_e32 v2, 0x80
	s_wait_xcnt 0x0
	s_and_saveexec_b32 s6, vcc_lo
	s_cbranch_execz .LBB7_15
; %bb.17:                               ;   in Loop: Header=BB7_16 Depth=1
	v_and_b32_e32 v2, 0x7fffffff, v5
	s_delay_alu instid0(VALU_DEP_1) | instskip(SKIP_1) | instid1(SALU_CYCLE_1)
	v_cmp_gt_u64_e32 vcc_lo, 0x43700001, v[2:3]
                                        ; implicit-def: $vgpr2
	s_and_saveexec_b32 s0, vcc_lo
	s_xor_b32 s7, exec_lo, s0
	s_cbranch_execz .LBB7_25
; %bb.18:                               ;   in Loop: Header=BB7_16 Depth=1
	v_mov_b32_e32 v2, 0
	s_mov_b32 s10, exec_lo
	v_cmpx_ne_u32_e32 0, v5
	s_cbranch_execz .LBB7_24
; %bb.19:                               ;   in Loop: Header=BB7_16 Depth=1
	v_bfe_u32 v11, v5, 23, 8
	v_and_b32_e32 v6, 0x7fffff, v5
	s_delay_alu instid0(VALU_DEP_2) | instskip(SKIP_2) | instid1(VALU_DEP_3)
	v_sub_nc_u32_e64 v2, 0x78, v11 clamp
	v_cmp_eq_u32_e32 vcc_lo, 0, v11
	v_add_nc_u32_e32 v11, 0xffffff89, v11
	v_cndmask_b32_e64 v16, v2, 0x77, vcc_lo
	v_or_b32_e32 v2, 0x800000, v6
	s_delay_alu instid0(VALU_DEP_1) | instskip(NEXT) | instid1(VALU_DEP_1)
	v_dual_cndmask_b32 v2, v2, v6 :: v_dual_add_nc_u32 v7, 20, v16
	v_lshlrev_b64_e64 v[6:7], v7, -1
	s_delay_alu instid0(VALU_DEP_2) | instskip(SKIP_1) | instid1(VALU_DEP_1)
	v_lshrrev_b64 v[14:15], v16, v[2:3]
	v_add_nc_u32_e32 v12, 19, v16
	v_lshlrev_b64_e64 v[12:13], v12, 1
	s_delay_alu instid0(VALU_DEP_4) | instskip(SKIP_2) | instid1(VALU_DEP_2)
	v_bfi_b32 v7, v7, 0, 0
	v_bfi_b32 v6, v6, 0, v2
	v_and_b32_e32 v2, 0x100000, v14
	v_cmp_eq_u64_e64 s0, v[6:7], v[12:13]
	s_delay_alu instid0(VALU_DEP_2) | instskip(SKIP_3) | instid1(VALU_DEP_1)
	v_cmp_eq_u64_e64 s1, 0, v[2:3]
	v_cndmask_b32_e64 v2, v11, 0xffffff8a, vcc_lo
	v_lshrrev_b32_e32 v6, 23, v14
                                        ; implicit-def: $vgpr11
	s_and_b32 vcc_lo, s1, s0
	v_add3_u32 v12, v2, v16, v6
	v_subrev_co_ci_u32_e64 v7, null, 0, v14, vcc_lo
	s_mov_b32 s0, exec_lo
	v_and_b32_e32 v2, 0xfffff, v7
	v_add_nc_u32_e32 v13, -1, v12
                                        ; implicit-def: $vgpr6_vgpr7
	s_delay_alu instid0(VALU_DEP_2) | instskip(NEXT) | instid1(VALU_DEP_2)
	v_add_nc_u32_e32 v2, v2, v14
	v_cmpx_ne_u32_e32 0, v13
	s_xor_b32 s0, exec_lo, s0
	s_cbranch_execz .LBB7_21
; %bb.20:                               ;   in Loop: Header=BB7_16 Depth=1
	s_delay_alu instid0(VALU_DEP_2) | instskip(SKIP_2) | instid1(VALU_DEP_2)
	v_and_b32_e32 v14, 0x1000000, v2
	v_mov_b32_e32 v15, v3
	v_bfe_u32 v6, v2, 24, 1
	v_cmp_eq_u64_e32 vcc_lo, 0, v[14:15]
	s_delay_alu instid0(VALU_DEP_2)
	v_lshrrev_b64 v[6:7], v6, v[2:3]
	v_cndmask_b32_e32 v11, v12, v13, vcc_lo
.LBB7_21:                               ;   in Loop: Header=BB7_16 Depth=1
	s_and_not1_saveexec_b32 s0, s0
; %bb.22:                               ;   in Loop: Header=BB7_16 Depth=1
	v_mov_b64_e32 v[6:7], v[2:3]
	v_bfe_u32 v11, v2, 23, 1
; %bb.23:                               ;   in Loop: Header=BB7_16 Depth=1
	s_or_b32 exec_lo, exec_lo, s0
	s_delay_alu instid0(VALU_DEP_2) | instskip(NEXT) | instid1(VALU_DEP_2)
	v_lshrrev_b64 v[6:7], 20, v[6:7]
	v_dual_lshrrev_b32 v2, 24, v5 :: v_dual_min_i32 v5, 15, v11
	v_cmp_gt_i32_e32 vcc_lo, 16, v11
	v_cmp_eq_u32_e64 s0, 0, v11
	s_delay_alu instid0(VALU_DEP_3) | instskip(SKIP_1) | instid1(VALU_DEP_2)
	v_and_b32_e32 v2, 0x80, v2
	v_dual_cndmask_b32 v7, 0, v7 :: v_dual_cndmask_b32 v6, 7, v6
	v_lshl_or_b32 v2, v5, 3, v2
	s_delay_alu instid0(VALU_DEP_2) | instskip(NEXT) | instid1(VALU_DEP_2)
	v_cmp_eq_u64_e32 vcc_lo, 0, v[6:7]
	v_and_or_b32 v2, v6, 7, v2
	s_and_b32 s0, s0, vcc_lo
	s_delay_alu instid0(VALU_DEP_1) | instid1(SALU_CYCLE_1)
	v_cndmask_b32_e64 v2, v2, 0, s0
.LBB7_24:                               ;   in Loop: Header=BB7_16 Depth=1
	s_or_b32 exec_lo, exec_lo, s10
                                        ; implicit-def: $vgpr5
.LBB7_25:                               ;   in Loop: Header=BB7_16 Depth=1
	s_and_not1_saveexec_b32 s0, s7
	s_cbranch_execz .LBB7_14
; %bb.26:                               ;   in Loop: Header=BB7_16 Depth=1
	v_lshrrev_b32_e32 v2, 24, v5
	s_delay_alu instid0(VALU_DEP_1)
	v_or_b32_e32 v2, 0x7f, v2
	s_branch .LBB7_14
.LBB7_27:
	s_endpgm
	.section	.rodata,"a",@progbits
	.p2align	6, 0x0
	.amdhsa_kernel _ZN4vllm42fused_add_rms_norm_static_fp8_quant_kernelIfLi8EN3c1015Float8_e4m3fnuzEEENSt9enable_ifIXooeqT0_Li0Entsr12_typeConvertIT_EE6existsEvE4typeEPT1_PS4_iS9_PKS4_PKffii
		.amdhsa_group_segment_fixed_size 68
		.amdhsa_private_segment_fixed_size 0
		.amdhsa_kernarg_size 320
		.amdhsa_user_sgpr_count 2
		.amdhsa_user_sgpr_dispatch_ptr 0
		.amdhsa_user_sgpr_queue_ptr 0
		.amdhsa_user_sgpr_kernarg_segment_ptr 1
		.amdhsa_user_sgpr_dispatch_id 0
		.amdhsa_user_sgpr_kernarg_preload_length 0
		.amdhsa_user_sgpr_kernarg_preload_offset 0
		.amdhsa_user_sgpr_private_segment_size 0
		.amdhsa_wavefront_size32 1
		.amdhsa_uses_dynamic_stack 0
		.amdhsa_enable_private_segment 0
		.amdhsa_system_sgpr_workgroup_id_x 1
		.amdhsa_system_sgpr_workgroup_id_y 0
		.amdhsa_system_sgpr_workgroup_id_z 0
		.amdhsa_system_sgpr_workgroup_info 0
		.amdhsa_system_vgpr_workitem_id 0
		.amdhsa_next_free_vgpr 17
		.amdhsa_next_free_sgpr 19
		.amdhsa_named_barrier_count 0
		.amdhsa_reserve_vcc 1
		.amdhsa_float_round_mode_32 0
		.amdhsa_float_round_mode_16_64 0
		.amdhsa_float_denorm_mode_32 3
		.amdhsa_float_denorm_mode_16_64 3
		.amdhsa_fp16_overflow 0
		.amdhsa_memory_ordered 1
		.amdhsa_forward_progress 1
		.amdhsa_inst_pref_size 16
		.amdhsa_round_robin_scheduling 0
		.amdhsa_exception_fp_ieee_invalid_op 0
		.amdhsa_exception_fp_denorm_src 0
		.amdhsa_exception_fp_ieee_div_zero 0
		.amdhsa_exception_fp_ieee_overflow 0
		.amdhsa_exception_fp_ieee_underflow 0
		.amdhsa_exception_fp_ieee_inexact 0
		.amdhsa_exception_int_div_zero 0
	.end_amdhsa_kernel
	.section	.text._ZN4vllm42fused_add_rms_norm_static_fp8_quant_kernelIfLi8EN3c1015Float8_e4m3fnuzEEENSt9enable_ifIXooeqT0_Li0Entsr12_typeConvertIT_EE6existsEvE4typeEPT1_PS4_iS9_PKS4_PKffii,"axG",@progbits,_ZN4vllm42fused_add_rms_norm_static_fp8_quant_kernelIfLi8EN3c1015Float8_e4m3fnuzEEENSt9enable_ifIXooeqT0_Li0Entsr12_typeConvertIT_EE6existsEvE4typeEPT1_PS4_iS9_PKS4_PKffii,comdat
.Lfunc_end7:
	.size	_ZN4vllm42fused_add_rms_norm_static_fp8_quant_kernelIfLi8EN3c1015Float8_e4m3fnuzEEENSt9enable_ifIXooeqT0_Li0Entsr12_typeConvertIT_EE6existsEvE4typeEPT1_PS4_iS9_PKS4_PKffii, .Lfunc_end7-_ZN4vllm42fused_add_rms_norm_static_fp8_quant_kernelIfLi8EN3c1015Float8_e4m3fnuzEEENSt9enable_ifIXooeqT0_Li0Entsr12_typeConvertIT_EE6existsEvE4typeEPT1_PS4_iS9_PKS4_PKffii
                                        ; -- End function
	.set _ZN4vllm42fused_add_rms_norm_static_fp8_quant_kernelIfLi8EN3c1015Float8_e4m3fnuzEEENSt9enable_ifIXooeqT0_Li0Entsr12_typeConvertIT_EE6existsEvE4typeEPT1_PS4_iS9_PKS4_PKffii.num_vgpr, 17
	.set _ZN4vllm42fused_add_rms_norm_static_fp8_quant_kernelIfLi8EN3c1015Float8_e4m3fnuzEEENSt9enable_ifIXooeqT0_Li0Entsr12_typeConvertIT_EE6existsEvE4typeEPT1_PS4_iS9_PKS4_PKffii.num_agpr, 0
	.set _ZN4vllm42fused_add_rms_norm_static_fp8_quant_kernelIfLi8EN3c1015Float8_e4m3fnuzEEENSt9enable_ifIXooeqT0_Li0Entsr12_typeConvertIT_EE6existsEvE4typeEPT1_PS4_iS9_PKS4_PKffii.numbered_sgpr, 19
	.set _ZN4vllm42fused_add_rms_norm_static_fp8_quant_kernelIfLi8EN3c1015Float8_e4m3fnuzEEENSt9enable_ifIXooeqT0_Li0Entsr12_typeConvertIT_EE6existsEvE4typeEPT1_PS4_iS9_PKS4_PKffii.num_named_barrier, 0
	.set _ZN4vllm42fused_add_rms_norm_static_fp8_quant_kernelIfLi8EN3c1015Float8_e4m3fnuzEEENSt9enable_ifIXooeqT0_Li0Entsr12_typeConvertIT_EE6existsEvE4typeEPT1_PS4_iS9_PKS4_PKffii.private_seg_size, 0
	.set _ZN4vllm42fused_add_rms_norm_static_fp8_quant_kernelIfLi8EN3c1015Float8_e4m3fnuzEEENSt9enable_ifIXooeqT0_Li0Entsr12_typeConvertIT_EE6existsEvE4typeEPT1_PS4_iS9_PKS4_PKffii.uses_vcc, 1
	.set _ZN4vllm42fused_add_rms_norm_static_fp8_quant_kernelIfLi8EN3c1015Float8_e4m3fnuzEEENSt9enable_ifIXooeqT0_Li0Entsr12_typeConvertIT_EE6existsEvE4typeEPT1_PS4_iS9_PKS4_PKffii.uses_flat_scratch, 0
	.set _ZN4vllm42fused_add_rms_norm_static_fp8_quant_kernelIfLi8EN3c1015Float8_e4m3fnuzEEENSt9enable_ifIXooeqT0_Li0Entsr12_typeConvertIT_EE6existsEvE4typeEPT1_PS4_iS9_PKS4_PKffii.has_dyn_sized_stack, 0
	.set _ZN4vllm42fused_add_rms_norm_static_fp8_quant_kernelIfLi8EN3c1015Float8_e4m3fnuzEEENSt9enable_ifIXooeqT0_Li0Entsr12_typeConvertIT_EE6existsEvE4typeEPT1_PS4_iS9_PKS4_PKffii.has_recursion, 0
	.set _ZN4vllm42fused_add_rms_norm_static_fp8_quant_kernelIfLi8EN3c1015Float8_e4m3fnuzEEENSt9enable_ifIXooeqT0_Li0Entsr12_typeConvertIT_EE6existsEvE4typeEPT1_PS4_iS9_PKS4_PKffii.has_indirect_call, 0
	.section	.AMDGPU.csdata,"",@progbits
; Kernel info:
; codeLenInByte = 2028
; TotalNumSgprs: 21
; NumVgprs: 17
; ScratchSize: 0
; MemoryBound: 0
; FloatMode: 240
; IeeeMode: 1
; LDSByteSize: 68 bytes/workgroup (compile time only)
; SGPRBlocks: 0
; VGPRBlocks: 1
; NumSGPRsForWavesPerEU: 21
; NumVGPRsForWavesPerEU: 17
; NamedBarCnt: 0
; Occupancy: 16
; WaveLimiterHint : 0
; COMPUTE_PGM_RSRC2:SCRATCH_EN: 0
; COMPUTE_PGM_RSRC2:USER_SGPR: 2
; COMPUTE_PGM_RSRC2:TRAP_HANDLER: 0
; COMPUTE_PGM_RSRC2:TGID_X_EN: 1
; COMPUTE_PGM_RSRC2:TGID_Y_EN: 0
; COMPUTE_PGM_RSRC2:TGID_Z_EN: 0
; COMPUTE_PGM_RSRC2:TIDIG_COMP_CNT: 0
	.section	.text._ZN4vllm42fused_add_rms_norm_static_fp8_quant_kernelIN3c104HalfELi8ENS1_13Float8_e4m3fnEEENSt9enable_ifIXaagtT0_Li0Esr12_typeConvertIT_EE6existsEvE4typeEPT1_PS5_iSA_PKS5_PKffii,"axG",@progbits,_ZN4vllm42fused_add_rms_norm_static_fp8_quant_kernelIN3c104HalfELi8ENS1_13Float8_e4m3fnEEENSt9enable_ifIXaagtT0_Li0Esr12_typeConvertIT_EE6existsEvE4typeEPT1_PS5_iSA_PKS5_PKffii,comdat
	.protected	_ZN4vllm42fused_add_rms_norm_static_fp8_quant_kernelIN3c104HalfELi8ENS1_13Float8_e4m3fnEEENSt9enable_ifIXaagtT0_Li0Esr12_typeConvertIT_EE6existsEvE4typeEPT1_PS5_iSA_PKS5_PKffii ; -- Begin function _ZN4vllm42fused_add_rms_norm_static_fp8_quant_kernelIN3c104HalfELi8ENS1_13Float8_e4m3fnEEENSt9enable_ifIXaagtT0_Li0Esr12_typeConvertIT_EE6existsEvE4typeEPT1_PS5_iSA_PKS5_PKffii
	.globl	_ZN4vllm42fused_add_rms_norm_static_fp8_quant_kernelIN3c104HalfELi8ENS1_13Float8_e4m3fnEEENSt9enable_ifIXaagtT0_Li0Esr12_typeConvertIT_EE6existsEvE4typeEPT1_PS5_iSA_PKS5_PKffii
	.p2align	8
	.type	_ZN4vllm42fused_add_rms_norm_static_fp8_quant_kernelIN3c104HalfELi8ENS1_13Float8_e4m3fnEEENSt9enable_ifIXaagtT0_Li0Esr12_typeConvertIT_EE6existsEvE4typeEPT1_PS5_iSA_PKS5_PKffii,@function
_ZN4vllm42fused_add_rms_norm_static_fp8_quant_kernelIN3c104HalfELi8ENS1_13Float8_e4m3fnEEENSt9enable_ifIXaagtT0_Li0Esr12_typeConvertIT_EE6existsEvE4typeEPT1_PS5_iSA_PKS5_PKffii: ; @_ZN4vllm42fused_add_rms_norm_static_fp8_quant_kernelIN3c104HalfELi8ENS1_13Float8_e4m3fnEEENSt9enable_ifIXaagtT0_Li0Esr12_typeConvertIT_EE6existsEvE4typeEPT1_PS5_iSA_PKS5_PKffii
; %bb.0:
	s_clause 0x1
	s_load_b32 s15, s[0:1], 0x38
	s_load_b64 s[8:9], s[0:1], 0x18
	s_bfe_u32 s4, ttmp6, 0x4000c
	s_and_b32 s3, ttmp6, 15
	s_add_co_i32 s4, s4, 1
	s_getreg_b32 s5, hwreg(HW_REG_IB_STS2, 6, 4)
	s_mul_i32 s4, ttmp9, s4
	s_delay_alu instid0(SALU_CYCLE_1) | instskip(SKIP_2) | instid1(SALU_CYCLE_1)
	s_add_co_i32 s3, s3, s4
                                        ; implicit-def: $sgpr4
	s_wait_kmcnt 0x0
	s_ashr_i32 s2, s15, 31
	s_lshr_b32 s2, s2, 29
	s_delay_alu instid0(SALU_CYCLE_1) | instskip(NEXT) | instid1(SALU_CYCLE_1)
	s_add_co_i32 s2, s15, s2
	s_ashr_i32 s7, s2, 3
	s_cmp_eq_u32 s5, 0
	v_cmp_gt_i32_e64 s2, s7, v0
	s_cselect_b32 s16, ttmp9, s3
	s_mov_b32 s3, exec_lo
	v_cmpx_le_i32_e64 s7, v0
	s_xor_b32 s3, exec_lo, s3
	s_cbranch_execz .LBB8_2
; %bb.1:
	s_load_b32 s4, s[0:1], 0x4c
	s_wait_kmcnt 0x0
	s_and_b32 s4, s4, 0xffff
.LBB8_2:
	s_or_saveexec_b32 s3, s3
	s_clause 0x1
	s_load_b64 s[10:11], s[0:1], 0x0
	s_load_b64 s[12:13], s[0:1], 0x28
	v_dual_mov_b32 v2, 0 :: v_dual_mov_b32 v10, s4
	s_mul_i32 s14, s7, s16
	s_xor_b32 exec_lo, exec_lo, s3
	s_cbranch_execz .LBB8_6
; %bb.3:
	s_clause 0x1
	s_load_b96 s[4:6], s[0:1], 0x8
	s_load_b32 s17, s[0:1], 0x4c
	v_dual_mov_b32 v2, 0 :: v_dual_mov_b32 v1, v0
	s_wait_kmcnt 0x0
	s_ashr_i32 s18, s6, 31
	s_delay_alu instid0(SALU_CYCLE_1) | instskip(NEXT) | instid1(SALU_CYCLE_1)
	s_lshr_b32 s18, s18, 29
	s_add_co_i32 s6, s6, s18
	s_delay_alu instid0(SALU_CYCLE_1)
	s_ashr_i32 s18, s6, 3
	s_and_b32 s6, s17, 0xffff
	s_mul_i32 s17, s18, s16
	s_mov_b32 s16, 0
.LBB8_4:                                ; =>This Inner Loop Header: Depth=1
	v_dual_add_nc_u32 v3, s17, v1 :: v_dual_add_nc_u32 v16, s14, v1
	global_load_b128 v[4:7], v3, s[4:5] scale_offset
	global_load_b128 v[8:11], v16, s[8:9] scale_offset
	v_add_nc_u32_e32 v1, s6, v1
	s_delay_alu instid0(VALU_DEP_1)
	v_cmp_le_i32_e32 vcc_lo, s7, v1
	s_or_b32 s16, vcc_lo, s16
	s_wait_loadcnt 0x0
	v_pk_add_f16 v5, v5, v9
	v_pk_add_f16 v4, v4, v8
	;; [unrolled: 1-line block ×4, first 2 shown]
	s_wait_xcnt 0x1
	s_delay_alu instid0(VALU_DEP_3) | instskip(NEXT) | instid1(VALU_DEP_2)
	v_dual_lshrrev_b32 v3, 16, v5 :: v_dual_lshrrev_b32 v8, 16, v4
	v_dual_lshrrev_b32 v12, 16, v7 :: v_dual_lshrrev_b32 v14, 16, v6
	v_cvt_f32_f16_e32 v11, v5
	s_delay_alu instid0(VALU_DEP_3) | instskip(NEXT) | instid1(VALU_DEP_4)
	v_cvt_f32_f16_e32 v9, v3
	v_cvt_f32_f16_e32 v8, v8
	;; [unrolled: 1-line block ×6, first 2 shown]
	v_pk_mul_f32 v[8:9], v[8:9], v[8:9]
	v_cvt_f32_f16_e32 v14, v6
	global_store_b128 v16, v[4:7], s[8:9] scale_offset
	v_pk_mul_f32 v[12:13], v[12:13], v[12:13]
	v_pk_fma_f32 v[8:9], v[10:11], v[10:11], v[8:9]
	s_delay_alu instid0(VALU_DEP_2) | instskip(NEXT) | instid1(VALU_DEP_2)
	v_pk_fma_f32 v[10:11], v[14:15], v[14:15], v[12:13]
	v_add_f32_e32 v3, v8, v9
	s_delay_alu instid0(VALU_DEP_1) | instskip(NEXT) | instid1(VALU_DEP_1)
	v_add_f32_e32 v3, v3, v10
	v_add_f32_e32 v3, v3, v11
	s_delay_alu instid0(VALU_DEP_1)
	v_add_f32_e32 v2, v2, v3
	s_wait_xcnt 0x0
	s_and_not1_b32 exec_lo, exec_lo, s16
	s_cbranch_execnz .LBB8_4
; %bb.5:
	s_or_b32 exec_lo, exec_lo, s16
	v_mov_b32_e32 v10, s6
.LBB8_6:
	s_or_b32 exec_lo, exec_lo, s3
	v_mbcnt_lo_u32_b32 v1, -1, 0
	v_and_b32_e32 v4, 0x3c0, v0
	s_load_b64 s[4:5], s[0:1], 0x20
	s_mov_b32 s3, exec_lo
	s_delay_alu instid0(VALU_DEP_2) | instskip(NEXT) | instid1(VALU_DEP_2)
	v_cmp_ne_u32_e32 vcc_lo, 63, v1
	v_sub_nc_u32_e64 v4, v10, v4 clamp
	v_add_nc_u32_e32 v6, 1, v1
	v_add_co_ci_u32_e64 v3, null, 0, v1, vcc_lo
	v_cmp_gt_u32_e32 vcc_lo, 62, v1
	s_delay_alu instid0(VALU_DEP_2)
	v_lshlrev_b32_e32 v3, 2, v3
	v_cndmask_b32_e64 v5, 0, 2, vcc_lo
	v_cmp_lt_u32_e32 vcc_lo, v6, v4
	v_add_nc_u32_e32 v6, 2, v1
	ds_bpermute_b32 v3, v3, v2
	v_add_lshl_u32 v5, v5, v1, 2
	s_wait_dscnt 0x0
	v_add_f32_e32 v3, v2, v3
	s_delay_alu instid0(VALU_DEP_1)
	v_cndmask_b32_e32 v2, v2, v3, vcc_lo
	v_cmp_gt_u32_e32 vcc_lo, 60, v1
	ds_bpermute_b32 v3, v5, v2
	v_cndmask_b32_e64 v5, 0, 4, vcc_lo
	v_cmp_lt_u32_e32 vcc_lo, v6, v4
	v_add_nc_u32_e32 v6, 4, v1
	s_delay_alu instid0(VALU_DEP_3) | instskip(SKIP_2) | instid1(VALU_DEP_1)
	v_add_lshl_u32 v5, v5, v1, 2
	s_wait_dscnt 0x0
	v_add_f32_e32 v3, v2, v3
	v_cndmask_b32_e32 v2, v2, v3, vcc_lo
	v_cmp_gt_u32_e32 vcc_lo, 56, v1
	ds_bpermute_b32 v3, v5, v2
	v_cndmask_b32_e64 v5, 0, 8, vcc_lo
	v_cmp_lt_u32_e32 vcc_lo, v6, v4
	v_add_nc_u32_e32 v6, 8, v1
	s_delay_alu instid0(VALU_DEP_3) | instskip(SKIP_2) | instid1(VALU_DEP_1)
	v_add_lshl_u32 v5, v5, v1, 2
	s_wait_dscnt 0x0
	v_add_f32_e32 v3, v2, v3
	v_cndmask_b32_e32 v2, v2, v3, vcc_lo
	v_cmp_gt_u32_e32 vcc_lo, 48, v1
	ds_bpermute_b32 v3, v5, v2
	v_cndmask_b32_e64 v5, 0, 16, vcc_lo
	v_cmp_lt_u32_e32 vcc_lo, v6, v4
	s_delay_alu instid0(VALU_DEP_2) | instskip(SKIP_2) | instid1(VALU_DEP_1)
	v_add_lshl_u32 v5, v5, v1, 2
	s_wait_dscnt 0x0
	v_add_f32_e32 v3, v2, v3
	v_cndmask_b32_e32 v3, v2, v3, vcc_lo
	ds_bpermute_b32 v2, v5, v3
	v_add_nc_u32_e32 v5, 16, v1
	s_delay_alu instid0(VALU_DEP_1) | instskip(SKIP_2) | instid1(VALU_DEP_1)
	v_cmp_lt_u32_e32 vcc_lo, v5, v4
	s_wait_dscnt 0x0
	v_dual_add_f32 v6, v3, v2 :: v_dual_lshlrev_b32 v2, 2, v1
	v_dual_cndmask_b32 v3, v3, v6, vcc_lo :: v_dual_bitop2_b32 v6, 32, v1 bitop3:0x54
	ds_bpermute_b32 v5, v2, v3 offset:128
	v_cmp_lt_u32_e32 vcc_lo, v6, v4
	s_wait_dscnt 0x0
	v_add_f32_e32 v5, v3, v5
	s_delay_alu instid0(VALU_DEP_1)
	v_cndmask_b32_e32 v3, v3, v5, vcc_lo
	v_cmpx_eq_u32_e32 0, v1
; %bb.7:
	v_lshrrev_b32_e32 v4, 4, v0
	s_delay_alu instid0(VALU_DEP_1)
	v_and_b32_e32 v4, 60, v4
	ds_store_b32 v4, v3
; %bb.8:
	s_or_b32 exec_lo, exec_lo, s3
	s_delay_alu instid0(SALU_CYCLE_1)
	s_mov_b32 s6, exec_lo
	s_wait_storecnt_dscnt 0x0
	s_barrier_signal -1
	s_barrier_wait -1
	v_cmpx_gt_u32_e32 16, v0
	s_cbranch_execz .LBB8_10
; %bb.9:
	ds_load_b32 v3, v2
	v_dual_add_nc_u32 v6, 63, v10 :: v_dual_bitop2_b32 v4, 15, v1 bitop3:0x40
	v_or_b32_e32 v2, 32, v2
	s_delay_alu instid0(VALU_DEP_2) | instskip(NEXT) | instid1(VALU_DEP_3)
	v_cmp_ne_u32_e32 vcc_lo, 15, v4
	v_dual_lshrrev_b32 v6, 6, v6 :: v_dual_add_nc_u32 v9, 2, v4
	v_cmp_gt_u32_e64 s3, 12, v4
	v_add_co_ci_u32_e64 v5, null, 0, v1, vcc_lo
	v_cmp_gt_u32_e32 vcc_lo, 14, v4
	s_delay_alu instid0(VALU_DEP_2)
	v_lshlrev_b32_e32 v5, 2, v5
	v_cndmask_b32_e64 v7, 0, 2, vcc_lo
	s_wait_dscnt 0x0
	ds_bpermute_b32 v5, v5, v3
	v_add_nc_u32_e32 v8, 1, v4
	v_add_lshl_u32 v7, v7, v1, 2
	s_wait_dscnt 0x0
	v_add_f32_e32 v5, v3, v5
	s_delay_alu instid0(VALU_DEP_3) | instskip(SKIP_2) | instid1(VALU_DEP_4)
	v_cmp_lt_u32_e32 vcc_lo, v8, v6
	v_cndmask_b32_e64 v8, 0, 4, s3
	v_cmp_lt_u32_e64 s3, v9, v6
	v_cndmask_b32_e32 v5, v3, v5, vcc_lo
	s_delay_alu instid0(VALU_DEP_3) | instskip(SKIP_3) | instid1(VALU_DEP_1)
	v_add_lshl_u32 v1, v8, v1, 2
	ds_bpermute_b32 v7, v7, v5
	s_wait_dscnt 0x0
	v_add_f32_e32 v7, v5, v7
	v_dual_cndmask_b32 v5, v5, v7, s3 :: v_dual_add_nc_u32 v7, 4, v4
	ds_bpermute_b32 v1, v1, v5
	v_cmp_lt_u32_e64 s3, v7, v6
	s_wait_dscnt 0x0
	v_add_f32_e32 v1, v5, v1
	s_delay_alu instid0(VALU_DEP_1) | instskip(SKIP_3) | instid1(VALU_DEP_1)
	v_cndmask_b32_e64 v1, v5, v1, s3
	ds_bpermute_b32 v2, v2, v1
	s_wait_dscnt 0x0
	v_dual_add_nc_u32 v4, 8, v4 :: v_dual_add_f32 v2, v1, v2
	v_cmp_lt_u32_e64 s3, v4, v6
	s_delay_alu instid0(VALU_DEP_1) | instskip(NEXT) | instid1(VALU_DEP_1)
	v_cndmask_b32_e64 v1, v1, v2, s3
	v_cndmask_b32_e32 v3, v3, v1, vcc_lo
.LBB8_10:
	s_or_b32 exec_lo, exec_lo, s6
	s_delay_alu instid0(SALU_CYCLE_1)
	s_mov_b32 s3, exec_lo
	v_cmpx_eq_u32_e32 0, v0
	s_cbranch_execz .LBB8_12
; %bb.11:
	s_cvt_f32_i32 s6, s15
	s_wait_xcnt 0x0
	s_load_b32 s0, s[0:1], 0x30
	s_delay_alu instid0(SALU_CYCLE_1) | instskip(SKIP_1) | instid1(VALU_DEP_2)
	v_div_scale_f32 v1, null, s6, s6, v3
	v_div_scale_f32 v5, vcc_lo, v3, s6, v3
	v_rcp_f32_e32 v2, v1
	v_nop
	s_delay_alu instid0(TRANS32_DEP_1) | instskip(NEXT) | instid1(VALU_DEP_1)
	v_fma_f32 v4, -v1, v2, 1.0
	v_fmac_f32_e32 v2, v4, v2
	s_delay_alu instid0(VALU_DEP_1) | instskip(NEXT) | instid1(VALU_DEP_1)
	v_mul_f32_e32 v4, v5, v2
	v_fma_f32 v6, -v1, v4, v5
	s_delay_alu instid0(VALU_DEP_1) | instskip(NEXT) | instid1(VALU_DEP_1)
	v_fmac_f32_e32 v4, v6, v2
	v_fma_f32 v1, -v1, v4, v5
	s_delay_alu instid0(VALU_DEP_1) | instskip(NEXT) | instid1(VALU_DEP_1)
	v_div_fmas_f32 v1, v1, v2, v4
	v_div_fixup_f32 v1, v1, s6, v3
	s_wait_kmcnt 0x0
	s_delay_alu instid0(VALU_DEP_1) | instskip(NEXT) | instid1(VALU_DEP_1)
	v_add_f32_e32 v1, s0, v1
	v_mul_f32_e32 v2, 0x4b800000, v1
	v_cmp_gt_f32_e32 vcc_lo, 0x800000, v1
	s_delay_alu instid0(VALU_DEP_2) | instskip(NEXT) | instid1(VALU_DEP_1)
	v_cndmask_b32_e32 v1, v1, v2, vcc_lo
	v_rsq_f32_e32 v1, v1
	v_nop
	s_delay_alu instid0(TRANS32_DEP_1) | instskip(NEXT) | instid1(VALU_DEP_1)
	v_mul_f32_e32 v2, 0x45800000, v1
	v_dual_cndmask_b32 v1, v1, v2 :: v_dual_mov_b32 v2, 0
	ds_store_b32 v2, v1 offset:64
.LBB8_12:
	s_or_b32 exec_lo, exec_lo, s3
	s_wait_dscnt 0x0
	s_barrier_signal -1
	s_barrier_wait -1
	s_wait_xcnt 0x0
	s_and_saveexec_b32 s0, s2
	s_cbranch_execz .LBB8_159
; %bb.13:
	s_wait_kmcnt 0x0
	s_load_b32 s0, s[12:13], 0x0
	v_add_lshl_u32 v16, v0, s14, 3
	s_mov_b32 s2, 0
	s_mov_b32 s3, 0x43e00000
	v_dual_mov_b32 v13, 0 :: v_dual_lshlrev_b32 v12, 4, v0
	ds_load_b32 v14, v13 offset:64
	v_mov_b32_e32 v11, v13
	s_delay_alu instid0(VALU_DEP_1) | instskip(SKIP_4) | instid1(VALU_DEP_2)
	v_lshlrev_b64_e32 v[18:19], 4, v[10:11]
	v_lshlrev_b32_e32 v11, 3, v10
	s_wait_kmcnt 0x0
	v_div_scale_f32 v1, null, s0, s0, 1.0
	v_div_scale_f32 v5, vcc_lo, 1.0, s0, 1.0
	v_rcp_f32_e32 v4, v1
	v_nop
	v_xor_b32_e32 v1, 0x80000000, v1
	s_wait_dscnt 0x0
	v_mov_b32_e32 v15, v14
	s_delay_alu instid0(TRANS32_DEP_1) | instid1(VALU_DEP_2)
	v_fma_f32 v2, v1, v4, 1.0
	s_delay_alu instid0(VALU_DEP_1) | instskip(NEXT) | instid1(VALU_DEP_1)
	v_fmac_f32_e32 v4, v2, v4
	v_mul_f32_e32 v6, v5, v4
	s_delay_alu instid0(VALU_DEP_1) | instskip(NEXT) | instid1(VALU_DEP_1)
	v_fma_f32 v2, v1, v6, v5
	v_fmac_f32_e32 v6, v2, v4
	v_add_nc_u64_e32 v[2:3], s[4:5], v[12:13]
	s_delay_alu instid0(VALU_DEP_2) | instskip(NEXT) | instid1(VALU_DEP_2)
	v_fmac_f32_e32 v5, v1, v6
	v_add_nc_u64_e32 v[20:21], 8, v[2:3]
	s_delay_alu instid0(VALU_DEP_2) | instskip(NEXT) | instid1(VALU_DEP_1)
	v_div_fmas_f32 v1, v5, v4, v6
	v_div_fixup_f32 v1, v1, s0, 1.0
	s_branch .LBB8_15
.LBB8_14:                               ;   in Loop: Header=BB8_15 Depth=1
	s_or_b32 exec_lo, exec_lo, s0
	v_add_nc_u32_e32 v0, v0, v10
	v_add_nc_u64_e32 v[20:21], v[20:21], v[18:19]
	v_add_nc_u32_e32 v16, v16, v11
	global_store_b8 v[2:3], v5, off offset:7
	v_cmp_le_i32_e32 vcc_lo, s7, v0
	s_or_b32 s2, vcc_lo, s2
	s_wait_xcnt 0x0
	s_and_not1_b32 exec_lo, exec_lo, s2
	s_cbranch_execz .LBB8_159
.LBB8_15:                               ; =>This Inner Loop Header: Depth=1
	v_add_nc_u32_e32 v12, s14, v0
                                        ; implicit-def: $vgpr17
	s_mov_b32 s0, exec_lo
	global_load_b128 v[2:5], v12, s[8:9] scale_offset
	global_load_b128 v[6:9], v[20:21], off offset:-8
	s_wait_loadcnt 0x1
	s_wait_xcnt 0x1
	v_lshrrev_b32_e32 v12, 16, v2
	v_cvt_f32_f16_e32 v22, v2
	s_delay_alu instid0(VALU_DEP_2) | instskip(NEXT) | instid1(VALU_DEP_1)
	v_cvt_f32_f16_e32 v23, v12
	v_pk_mul_f32 v[22:23], v[14:15], v[22:23]
	s_delay_alu instid0(VALU_DEP_1) | instskip(SKIP_1) | instid1(VALU_DEP_1)
	v_cvt_pk_f16_f32 v2, v22, v23
	s_wait_loadcnt 0x0
	v_pk_mul_f16 v2, v6, v2
	s_delay_alu instid0(VALU_DEP_1) | instskip(NEXT) | instid1(VALU_DEP_1)
	v_cvt_f32_f16_e32 v6, v2
	v_mul_f32_e32 v6, v1, v6
	s_delay_alu instid0(VALU_DEP_1) | instskip(NEXT) | instid1(VALU_DEP_1)
	v_minmax_num_f32 v22, v6, s3, 0xc3e00000
	v_and_b32_e32 v12, 0x7f800000, v22
	v_lshrrev_b32_e32 v6, 24, v22
	s_wait_xcnt 0x0
	s_delay_alu instid0(VALU_DEP_2)
	v_cmpx_ne_u64_e32 0x7f800000, v[12:13]
	s_xor_b32 s4, exec_lo, s0
	s_cbranch_execz .LBB8_31
; %bb.16:                               ;   in Loop: Header=BB8_15 Depth=1
	v_and_b32_e32 v12, 0x7fffffff, v22
	v_and_b32_e32 v6, 0x80, v6
                                        ; implicit-def: $vgpr17
	s_mov_b32 s0, exec_lo
	s_delay_alu instid0(VALU_DEP_2)
	v_cmpx_gt_u64_e32 0x43e00001, v[12:13]
	s_xor_b32 s5, exec_lo, s0
	s_cbranch_execz .LBB8_28
; %bb.17:                               ;   in Loop: Header=BB8_15 Depth=1
	v_mov_b32_e32 v17, 0
	s_mov_b32 s6, exec_lo
	v_cmpx_ne_u32_e32 0, v22
	s_cbranch_execz .LBB8_27
; %bb.18:                               ;   in Loop: Header=BB8_15 Depth=1
	v_bfe_u32 v17, v22, 23, 8
	v_and_b32_e32 v22, 0x7fffff, v22
	s_delay_alu instid0(VALU_DEP_2) | instskip(SKIP_2) | instid1(VALU_DEP_3)
	v_sub_nc_u32_e64 v12, 0x79, v17 clamp
	v_cmp_eq_u32_e32 vcc_lo, 0, v17
	v_add_nc_u32_e32 v17, 0xffffff88, v17
	v_cndmask_b32_e64 v28, v12, 0x78, vcc_lo
	v_or_b32_e32 v12, 0x800000, v22
	s_delay_alu instid0(VALU_DEP_1) | instskip(NEXT) | instid1(VALU_DEP_1)
	v_dual_cndmask_b32 v12, v12, v22 :: v_dual_add_nc_u32 v23, 20, v28
	v_lshlrev_b64_e64 v[22:23], v23, -1
	s_delay_alu instid0(VALU_DEP_2) | instskip(NEXT) | instid1(VALU_DEP_2)
	v_lshrrev_b64 v[24:25], v28, v[12:13]
	v_bfi_b32 v22, v22, 0, v12
	s_delay_alu instid0(VALU_DEP_2) | instskip(NEXT) | instid1(VALU_DEP_4)
	v_and_b32_e32 v12, 0x100000, v24
	v_bfi_b32 v23, v23, 0, 0
	s_delay_alu instid0(VALU_DEP_2) | instskip(SKIP_2) | instid1(VALU_DEP_1)
	v_cmp_eq_u64_e64 s1, 0, v[12:13]
	v_cndmask_b32_e64 v12, v17, 0xffffff89, vcc_lo
	v_lshrrev_b32_e32 v17, 23, v24
	v_add3_u32 v17, v12, v28, v17
	s_delay_alu instid0(VALU_DEP_1) | instskip(NEXT) | instid1(VALU_DEP_1)
	v_dual_add_nc_u32 v26, 19, v28 :: v_dual_add_nc_u32 v25, -1, v17
	v_lshlrev_b64_e64 v[26:27], v26, 1
	s_delay_alu instid0(VALU_DEP_1) | instskip(SKIP_3) | instid1(VALU_DEP_1)
	v_cmp_eq_u64_e64 s0, v[22:23], v[26:27]
	s_and_b32 vcc_lo, s1, s0
	s_mov_b32 s0, exec_lo
	v_subrev_co_ci_u32_e64 v22, null, 0, v24, vcc_lo
	v_and_b32_e32 v12, 0xfffff, v22
                                        ; implicit-def: $vgpr22_vgpr23
	s_delay_alu instid0(VALU_DEP_1)
	v_add_nc_u32_e32 v12, v12, v24
                                        ; implicit-def: $vgpr24
	v_cmpx_ne_u32_e32 0, v25
	s_xor_b32 s0, exec_lo, s0
	s_cbranch_execz .LBB8_20
; %bb.19:                               ;   in Loop: Header=BB8_15 Depth=1
	s_delay_alu instid0(VALU_DEP_2) | instskip(SKIP_2) | instid1(VALU_DEP_2)
	v_and_b32_e32 v26, 0x1000000, v12
	v_mov_b32_e32 v27, v13
	v_bfe_u32 v22, v12, 24, 1
	v_cmp_eq_u64_e32 vcc_lo, 0, v[26:27]
	s_delay_alu instid0(VALU_DEP_2)
	v_lshrrev_b64 v[22:23], v22, v[12:13]
	v_cndmask_b32_e32 v24, v17, v25, vcc_lo
.LBB8_20:                               ;   in Loop: Header=BB8_15 Depth=1
	s_and_not1_saveexec_b32 s0, s0
; %bb.21:                               ;   in Loop: Header=BB8_15 Depth=1
	v_mov_b64_e32 v[22:23], v[12:13]
	v_bfe_u32 v24, v12, 23, 1
; %bb.22:                               ;   in Loop: Header=BB8_15 Depth=1
	s_or_b32 exec_lo, exec_lo, s0
	s_delay_alu instid0(VALU_DEP_2) | instskip(NEXT) | instid1(VALU_DEP_2)
	v_lshrrev_b64 v[22:23], 20, v[22:23]
	v_cmp_gt_i32_e32 vcc_lo, 16, v24
	v_cmp_ne_u32_e64 s0, 0, v24
                                        ; implicit-def: $vgpr17
	s_delay_alu instid0(VALU_DEP_3) | instskip(NEXT) | instid1(VALU_DEP_1)
	v_dual_cndmask_b32 v23, 0, v23 :: v_dual_cndmask_b32 v22, 7, v22
	v_cmp_ne_u64_e32 vcc_lo, 0, v[22:23]
	s_or_b32 s0, s0, vcc_lo
	s_delay_alu instid0(SALU_CYCLE_1) | instskip(NEXT) | instid1(SALU_CYCLE_1)
	s_and_saveexec_b32 s1, s0
	s_xor_b32 s0, exec_lo, s1
; %bb.23:                               ;   in Loop: Header=BB8_15 Depth=1
	v_min_i32_e32 v12, 15, v24
	s_delay_alu instid0(VALU_DEP_1) | instskip(NEXT) | instid1(VALU_DEP_1)
	v_lshl_or_b32 v6, v12, 3, v6
	v_and_or_b32 v17, v22, 7, v6
                                        ; implicit-def: $vgpr6
; %bb.24:                               ;   in Loop: Header=BB8_15 Depth=1
	s_and_not1_saveexec_b32 s0, s0
; %bb.25:                               ;   in Loop: Header=BB8_15 Depth=1
	v_mov_b32_e32 v17, v6
; %bb.26:                               ;   in Loop: Header=BB8_15 Depth=1
	s_or_b32 exec_lo, exec_lo, s0
.LBB8_27:                               ;   in Loop: Header=BB8_15 Depth=1
	s_delay_alu instid0(SALU_CYCLE_1)
	s_or_b32 exec_lo, exec_lo, s6
                                        ; implicit-def: $vgpr6
.LBB8_28:                               ;   in Loop: Header=BB8_15 Depth=1
	s_and_not1_saveexec_b32 s0, s5
; %bb.29:                               ;   in Loop: Header=BB8_15 Depth=1
	v_or_b32_e32 v17, 0x7e, v6
; %bb.30:                               ;   in Loop: Header=BB8_15 Depth=1
	s_or_b32 exec_lo, exec_lo, s0
                                        ; implicit-def: $vgpr6
.LBB8_31:                               ;   in Loop: Header=BB8_15 Depth=1
	s_and_not1_saveexec_b32 s0, s4
; %bb.32:                               ;   in Loop: Header=BB8_15 Depth=1
	v_or_b32_e32 v17, 0x7f, v6
; %bb.33:                               ;   in Loop: Header=BB8_15 Depth=1
	s_or_b32 exec_lo, exec_lo, s0
	v_lshrrev_b32_e32 v2, 16, v2
	global_store_b8 v16, v17, s[10:11]
                                        ; implicit-def: $vgpr6
	s_mov_b32 s0, exec_lo
	v_cvt_f32_f16_e32 v2, v2
	s_delay_alu instid0(VALU_DEP_1) | instskip(NEXT) | instid1(VALU_DEP_1)
	v_mul_f32_e32 v2, v1, v2
	v_minmax_num_f32 v22, v2, s3, 0xc3e00000
	s_delay_alu instid0(VALU_DEP_1) | instskip(SKIP_2) | instid1(VALU_DEP_2)
	v_and_b32_e32 v12, 0x7f800000, v22
	v_lshrrev_b32_e32 v2, 24, v22
	s_wait_xcnt 0x0
	v_cmpx_ne_u64_e32 0x7f800000, v[12:13]
	s_xor_b32 s4, exec_lo, s0
	s_cbranch_execz .LBB8_49
; %bb.34:                               ;   in Loop: Header=BB8_15 Depth=1
	v_and_b32_e32 v12, 0x7fffffff, v22
	v_and_b32_e32 v2, 0x80, v2
                                        ; implicit-def: $vgpr6
	s_mov_b32 s0, exec_lo
	s_delay_alu instid0(VALU_DEP_2)
	v_cmpx_gt_u64_e32 0x43e00001, v[12:13]
	s_xor_b32 s5, exec_lo, s0
	s_cbranch_execz .LBB8_46
; %bb.35:                               ;   in Loop: Header=BB8_15 Depth=1
	v_mov_b32_e32 v6, 0
	s_mov_b32 s6, exec_lo
	v_cmpx_ne_u32_e32 0, v22
	s_cbranch_execz .LBB8_45
; %bb.36:                               ;   in Loop: Header=BB8_15 Depth=1
	v_bfe_u32 v6, v22, 23, 8
	v_and_b32_e32 v17, 0x7fffff, v22
	s_delay_alu instid0(VALU_DEP_2) | instskip(SKIP_2) | instid1(VALU_DEP_3)
	v_sub_nc_u32_e64 v12, 0x79, v6 clamp
	v_cmp_eq_u32_e32 vcc_lo, 0, v6
	v_add_nc_u32_e32 v6, 0xffffff88, v6
	v_cndmask_b32_e64 v28, v12, 0x78, vcc_lo
	v_or_b32_e32 v12, 0x800000, v17
	s_delay_alu instid0(VALU_DEP_3) | instskip(NEXT) | instid1(VALU_DEP_2)
	v_cndmask_b32_e64 v6, v6, 0xffffff89, vcc_lo
	v_dual_add_nc_u32 v22, 20, v28 :: v_dual_cndmask_b32 v12, v12, v17, vcc_lo
	s_delay_alu instid0(VALU_DEP_1) | instskip(NEXT) | instid1(VALU_DEP_2)
	v_lshlrev_b64_e64 v[22:23], v22, -1
	v_lshrrev_b64 v[26:27], v28, v[12:13]
	v_add_nc_u32_e32 v17, 19, v28
	s_delay_alu instid0(VALU_DEP_3) | instskip(NEXT) | instid1(VALU_DEP_3)
	v_bfi_b32 v22, v22, 0, v12
	v_and_b32_e32 v12, 0x100000, v26
	v_bfi_b32 v23, v23, 0, 0
	s_delay_alu instid0(VALU_DEP_2) | instskip(SKIP_2) | instid1(VALU_DEP_2)
	v_cmp_eq_u64_e64 s1, 0, v[12:13]
	v_lshrrev_b32_e32 v12, 23, v26
	v_lshlrev_b64_e64 v[24:25], v17, 1
	v_add3_u32 v6, v6, v28, v12
	s_delay_alu instid0(VALU_DEP_2) | instskip(NEXT) | instid1(VALU_DEP_2)
	v_cmp_eq_u64_e64 s0, v[22:23], v[24:25]
                                        ; implicit-def: $vgpr22_vgpr23
	v_add_nc_u32_e32 v24, -1, v6
	s_and_b32 vcc_lo, s1, s0
	s_mov_b32 s0, exec_lo
	v_subrev_co_ci_u32_e64 v17, null, 0, v26, vcc_lo
	s_delay_alu instid0(VALU_DEP_1) | instskip(NEXT) | instid1(VALU_DEP_1)
	v_and_b32_e32 v12, 0xfffff, v17
                                        ; implicit-def: $vgpr17
	v_add_nc_u32_e32 v12, v12, v26
	v_cmpx_ne_u32_e32 0, v24
	s_xor_b32 s0, exec_lo, s0
	s_cbranch_execz .LBB8_38
; %bb.37:                               ;   in Loop: Header=BB8_15 Depth=1
	s_delay_alu instid0(VALU_DEP_2) | instskip(SKIP_2) | instid1(VALU_DEP_2)
	v_and_b32_e32 v26, 0x1000000, v12
	v_mov_b32_e32 v27, v13
	v_bfe_u32 v17, v12, 24, 1
	v_cmp_eq_u64_e32 vcc_lo, 0, v[26:27]
	s_delay_alu instid0(VALU_DEP_2)
	v_lshrrev_b64 v[22:23], v17, v[12:13]
	v_cndmask_b32_e32 v17, v6, v24, vcc_lo
.LBB8_38:                               ;   in Loop: Header=BB8_15 Depth=1
	s_and_not1_saveexec_b32 s0, s0
; %bb.39:                               ;   in Loop: Header=BB8_15 Depth=1
	v_mov_b64_e32 v[22:23], v[12:13]
	v_bfe_u32 v17, v12, 23, 1
; %bb.40:                               ;   in Loop: Header=BB8_15 Depth=1
	s_or_b32 exec_lo, exec_lo, s0
	s_delay_alu instid0(VALU_DEP_2) | instskip(NEXT) | instid1(VALU_DEP_2)
	v_lshrrev_b64 v[22:23], 20, v[22:23]
	v_cmp_gt_i32_e32 vcc_lo, 16, v17
	v_cmp_ne_u32_e64 s0, 0, v17
                                        ; implicit-def: $vgpr6
	s_delay_alu instid0(VALU_DEP_3) | instskip(NEXT) | instid1(VALU_DEP_1)
	v_dual_cndmask_b32 v23, 0, v23 :: v_dual_cndmask_b32 v22, 7, v22
	v_cmp_ne_u64_e32 vcc_lo, 0, v[22:23]
	s_or_b32 s0, s0, vcc_lo
	s_delay_alu instid0(SALU_CYCLE_1) | instskip(NEXT) | instid1(SALU_CYCLE_1)
	s_and_saveexec_b32 s1, s0
	s_xor_b32 s0, exec_lo, s1
; %bb.41:                               ;   in Loop: Header=BB8_15 Depth=1
	v_min_i32_e32 v6, 15, v17
	s_delay_alu instid0(VALU_DEP_1) | instskip(NEXT) | instid1(VALU_DEP_1)
	v_lshl_or_b32 v2, v6, 3, v2
	v_and_or_b32 v6, v22, 7, v2
                                        ; implicit-def: $vgpr2
; %bb.42:                               ;   in Loop: Header=BB8_15 Depth=1
	s_and_not1_saveexec_b32 s0, s0
; %bb.43:                               ;   in Loop: Header=BB8_15 Depth=1
	v_mov_b32_e32 v6, v2
; %bb.44:                               ;   in Loop: Header=BB8_15 Depth=1
	s_or_b32 exec_lo, exec_lo, s0
.LBB8_45:                               ;   in Loop: Header=BB8_15 Depth=1
	s_delay_alu instid0(SALU_CYCLE_1)
	s_or_b32 exec_lo, exec_lo, s6
                                        ; implicit-def: $vgpr2
.LBB8_46:                               ;   in Loop: Header=BB8_15 Depth=1
	s_and_not1_saveexec_b32 s0, s5
; %bb.47:                               ;   in Loop: Header=BB8_15 Depth=1
	v_or_b32_e32 v6, 0x7e, v2
; %bb.48:                               ;   in Loop: Header=BB8_15 Depth=1
	s_or_b32 exec_lo, exec_lo, s0
                                        ; implicit-def: $vgpr2
.LBB8_49:                               ;   in Loop: Header=BB8_15 Depth=1
	s_and_not1_saveexec_b32 s0, s4
; %bb.50:                               ;   in Loop: Header=BB8_15 Depth=1
	v_or_b32_e32 v6, 0x7f, v2
; %bb.51:                               ;   in Loop: Header=BB8_15 Depth=1
	s_or_b32 exec_lo, exec_lo, s0
	v_dual_lshrrev_b32 v2, 16, v3 :: v_dual_ashrrev_i32 v17, 31, v16
	v_cvt_f32_f16_e32 v22, v3
	s_mov_b32 s0, exec_lo
	s_delay_alu instid0(VALU_DEP_2) | instskip(NEXT) | instid1(VALU_DEP_1)
	v_cvt_f32_f16_e32 v23, v2
	v_pk_mul_f32 v[2:3], v[14:15], v[22:23]
	s_delay_alu instid0(VALU_DEP_1) | instskip(NEXT) | instid1(VALU_DEP_1)
	v_cvt_pk_f16_f32 v2, v2, v3
	v_pk_mul_f16 v22, v7, v2
                                        ; implicit-def: $vgpr7
	s_delay_alu instid0(VALU_DEP_1) | instskip(NEXT) | instid1(VALU_DEP_1)
	v_cvt_f32_f16_e32 v2, v22
	v_mul_f32_e32 v2, v1, v2
	s_delay_alu instid0(VALU_DEP_1) | instskip(SKIP_1) | instid1(VALU_DEP_2)
	v_minmax_num_f32 v23, v2, s3, 0xc3e00000
	v_add_nc_u64_e32 v[2:3], s[10:11], v[16:17]
	v_and_b32_e32 v12, 0x7f800000, v23
	v_lshrrev_b32_e32 v17, 24, v23
	global_store_b8 v[2:3], v6, off offset:1
	s_wait_xcnt 0x0
	v_cmpx_ne_u64_e32 0x7f800000, v[12:13]
	s_xor_b32 s4, exec_lo, s0
	s_cbranch_execz .LBB8_67
; %bb.52:                               ;   in Loop: Header=BB8_15 Depth=1
	v_and_b32_e32 v12, 0x7fffffff, v23
	v_and_b32_e32 v17, 0x80, v17
                                        ; implicit-def: $vgpr7
	s_mov_b32 s0, exec_lo
	s_delay_alu instid0(VALU_DEP_2)
	v_cmpx_gt_u64_e32 0x43e00001, v[12:13]
	s_xor_b32 s5, exec_lo, s0
	s_cbranch_execz .LBB8_64
; %bb.53:                               ;   in Loop: Header=BB8_15 Depth=1
	v_mov_b32_e32 v7, 0
	s_mov_b32 s6, exec_lo
	v_cmpx_ne_u32_e32 0, v23
	s_cbranch_execz .LBB8_63
; %bb.54:                               ;   in Loop: Header=BB8_15 Depth=1
	v_bfe_u32 v28, v23, 23, 8
	v_and_b32_e32 v7, 0x7fffff, v23
	s_delay_alu instid0(VALU_DEP_2) | instskip(SKIP_1) | instid1(VALU_DEP_2)
	v_sub_nc_u32_e64 v6, 0x79, v28 clamp
	v_cmp_eq_u32_e32 vcc_lo, 0, v28
	v_cndmask_b32_e64 v23, v6, 0x78, vcc_lo
	s_delay_alu instid0(VALU_DEP_4) | instskip(NEXT) | instid1(VALU_DEP_1)
	v_or_b32_e32 v6, 0x800000, v7
	v_cndmask_b32_e32 v12, v6, v7, vcc_lo
	s_delay_alu instid0(VALU_DEP_1) | instskip(SKIP_2) | instid1(VALU_DEP_2)
	v_lshrrev_b64 v[26:27], v23, v[12:13]
	v_add_nc_u32_e32 v24, 20, v23
	v_add_nc_u32_e32 v27, 0xffffff88, v28
	v_lshlrev_b64_e64 v[6:7], v24, -1
	v_add_nc_u32_e32 v24, 19, v23
	s_delay_alu instid0(VALU_DEP_1) | instskip(NEXT) | instid1(VALU_DEP_3)
	v_lshlrev_b64_e64 v[24:25], v24, 1
	v_bfi_b32 v7, v7, 0, 0
	s_delay_alu instid0(VALU_DEP_4) | instskip(SKIP_1) | instid1(VALU_DEP_2)
	v_bfi_b32 v6, v6, 0, v12
	v_and_b32_e32 v12, 0x100000, v26
	v_cmp_eq_u64_e64 s0, v[6:7], v[24:25]
	s_delay_alu instid0(VALU_DEP_2) | instskip(SKIP_3) | instid1(VALU_DEP_1)
	v_cmp_eq_u64_e64 s1, 0, v[12:13]
	v_cndmask_b32_e64 v6, v27, 0xffffff89, vcc_lo
	v_lshrrev_b32_e32 v7, 23, v26
	s_and_b32 vcc_lo, s1, s0
	v_add3_u32 v24, v6, v23, v7
	v_subrev_co_ci_u32_e64 v12, null, 0, v26, vcc_lo
	s_mov_b32 s0, exec_lo
                                        ; implicit-def: $vgpr23
	v_add_nc_u32_e32 v25, -1, v24
	v_and_b32_e32 v6, 0xfffff, v12
	s_delay_alu instid0(VALU_DEP_1) | instskip(NEXT) | instid1(VALU_DEP_3)
	v_add_nc_u32_e32 v12, v6, v26
                                        ; implicit-def: $vgpr6_vgpr7
	v_cmpx_ne_u32_e32 0, v25
	s_xor_b32 s0, exec_lo, s0
	s_cbranch_execz .LBB8_56
; %bb.55:                               ;   in Loop: Header=BB8_15 Depth=1
	s_delay_alu instid0(VALU_DEP_2) | instskip(SKIP_2) | instid1(VALU_DEP_2)
	v_and_b32_e32 v26, 0x1000000, v12
	v_mov_b32_e32 v27, v13
	v_bfe_u32 v6, v12, 24, 1
	v_cmp_eq_u64_e32 vcc_lo, 0, v[26:27]
	s_delay_alu instid0(VALU_DEP_2)
	v_lshrrev_b64 v[6:7], v6, v[12:13]
	v_cndmask_b32_e32 v23, v24, v25, vcc_lo
.LBB8_56:                               ;   in Loop: Header=BB8_15 Depth=1
	s_and_not1_saveexec_b32 s0, s0
; %bb.57:                               ;   in Loop: Header=BB8_15 Depth=1
	v_mov_b64_e32 v[6:7], v[12:13]
	v_bfe_u32 v23, v12, 23, 1
; %bb.58:                               ;   in Loop: Header=BB8_15 Depth=1
	s_or_b32 exec_lo, exec_lo, s0
	s_delay_alu instid0(VALU_DEP_2) | instskip(NEXT) | instid1(VALU_DEP_2)
	v_lshrrev_b64 v[6:7], 20, v[6:7]
	v_cmp_gt_i32_e32 vcc_lo, 16, v23
	v_cmp_ne_u32_e64 s0, 0, v23
	s_delay_alu instid0(VALU_DEP_3) | instskip(NEXT) | instid1(VALU_DEP_1)
	v_dual_cndmask_b32 v7, 0, v7 :: v_dual_cndmask_b32 v6, 7, v6
	v_cmp_ne_u64_e32 vcc_lo, 0, v[6:7]
                                        ; implicit-def: $vgpr7
	s_or_b32 s0, s0, vcc_lo
	s_delay_alu instid0(SALU_CYCLE_1) | instskip(NEXT) | instid1(SALU_CYCLE_1)
	s_and_saveexec_b32 s1, s0
	s_xor_b32 s0, exec_lo, s1
; %bb.59:                               ;   in Loop: Header=BB8_15 Depth=1
	v_min_i32_e32 v7, 15, v23
	s_delay_alu instid0(VALU_DEP_1) | instskip(NEXT) | instid1(VALU_DEP_1)
	v_lshl_or_b32 v7, v7, 3, v17
                                        ; implicit-def: $vgpr17
	v_and_or_b32 v7, v6, 7, v7
; %bb.60:                               ;   in Loop: Header=BB8_15 Depth=1
	s_and_not1_saveexec_b32 s0, s0
; %bb.61:                               ;   in Loop: Header=BB8_15 Depth=1
	v_mov_b32_e32 v7, v17
; %bb.62:                               ;   in Loop: Header=BB8_15 Depth=1
	s_or_b32 exec_lo, exec_lo, s0
.LBB8_63:                               ;   in Loop: Header=BB8_15 Depth=1
	s_delay_alu instid0(SALU_CYCLE_1)
	s_or_b32 exec_lo, exec_lo, s6
                                        ; implicit-def: $vgpr17
.LBB8_64:                               ;   in Loop: Header=BB8_15 Depth=1
	s_and_not1_saveexec_b32 s0, s5
; %bb.65:                               ;   in Loop: Header=BB8_15 Depth=1
	v_or_b32_e32 v7, 0x7e, v17
; %bb.66:                               ;   in Loop: Header=BB8_15 Depth=1
	s_or_b32 exec_lo, exec_lo, s0
                                        ; implicit-def: $vgpr17
.LBB8_67:                               ;   in Loop: Header=BB8_15 Depth=1
	s_and_not1_saveexec_b32 s0, s4
; %bb.68:                               ;   in Loop: Header=BB8_15 Depth=1
	v_or_b32_e32 v7, 0x7f, v17
; %bb.69:                               ;   in Loop: Header=BB8_15 Depth=1
	s_or_b32 exec_lo, exec_lo, s0
	v_lshrrev_b32_e32 v6, 16, v22
	global_store_b8 v[2:3], v7, off offset:2
                                        ; implicit-def: $vgpr7
	s_mov_b32 s0, exec_lo
	v_cvt_f32_f16_e32 v6, v6
	s_delay_alu instid0(VALU_DEP_1) | instskip(NEXT) | instid1(VALU_DEP_1)
	v_mul_f32_e32 v6, v1, v6
	v_minmax_num_f32 v6, v6, s3, 0xc3e00000
	s_delay_alu instid0(VALU_DEP_1) | instskip(SKIP_2) | instid1(VALU_DEP_2)
	v_and_b32_e32 v12, 0x7f800000, v6
	v_lshrrev_b32_e32 v17, 24, v6
	s_wait_xcnt 0x0
	v_cmpx_ne_u64_e32 0x7f800000, v[12:13]
	s_xor_b32 s4, exec_lo, s0
	s_cbranch_execz .LBB8_85
; %bb.70:                               ;   in Loop: Header=BB8_15 Depth=1
	v_and_b32_e32 v12, 0x7fffffff, v6
	v_and_b32_e32 v17, 0x80, v17
                                        ; implicit-def: $vgpr7
	s_mov_b32 s0, exec_lo
	s_delay_alu instid0(VALU_DEP_2)
	v_cmpx_gt_u64_e32 0x43e00001, v[12:13]
	s_xor_b32 s5, exec_lo, s0
	s_cbranch_execz .LBB8_82
; %bb.71:                               ;   in Loop: Header=BB8_15 Depth=1
	v_mov_b32_e32 v7, 0
	s_mov_b32 s6, exec_lo
	v_cmpx_ne_u32_e32 0, v6
	s_cbranch_execz .LBB8_81
; %bb.72:                               ;   in Loop: Header=BB8_15 Depth=1
	v_bfe_u32 v26, v6, 23, 8
	v_and_b32_e32 v6, 0x7fffff, v6
	s_delay_alu instid0(VALU_DEP_2) | instskip(SKIP_1) | instid1(VALU_DEP_2)
	v_sub_nc_u32_e64 v7, 0x79, v26 clamp
	v_cmp_eq_u32_e32 vcc_lo, 0, v26
	v_cndmask_b32_e64 v27, v7, 0x78, vcc_lo
	s_delay_alu instid0(VALU_DEP_4) | instskip(NEXT) | instid1(VALU_DEP_1)
	v_or_b32_e32 v7, 0x800000, v6
	v_dual_add_nc_u32 v22, 20, v27 :: v_dual_cndmask_b32 v12, v7, v6, vcc_lo
	s_delay_alu instid0(VALU_DEP_1) | instskip(NEXT) | instid1(VALU_DEP_2)
	v_lshlrev_b64_e64 v[6:7], v22, -1
	v_lshrrev_b64 v[22:23], v27, v[12:13]
	v_add_nc_u32_e32 v24, 19, v27
	v_add_nc_u32_e32 v23, 0xffffff88, v26
	s_delay_alu instid0(VALU_DEP_2) | instskip(SKIP_3) | instid1(VALU_DEP_2)
	v_lshlrev_b64_e64 v[24:25], v24, 1
	v_bfi_b32 v7, v7, 0, 0
	v_bfi_b32 v6, v6, 0, v12
	v_and_b32_e32 v12, 0x100000, v22
	v_cmp_eq_u64_e64 s0, v[6:7], v[24:25]
	s_delay_alu instid0(VALU_DEP_2) | instskip(SKIP_3) | instid1(VALU_DEP_1)
	v_cmp_eq_u64_e64 s1, 0, v[12:13]
	v_cndmask_b32_e64 v6, v23, 0xffffff89, vcc_lo
	v_lshrrev_b32_e32 v7, 23, v22
	s_and_b32 vcc_lo, s1, s0
	v_add3_u32 v23, v6, v27, v7
	v_subrev_co_ci_u32_e64 v12, null, 0, v22, vcc_lo
	s_mov_b32 s0, exec_lo
	v_and_b32_e32 v6, 0xfffff, v12
	s_delay_alu instid0(VALU_DEP_1) | instskip(NEXT) | instid1(VALU_DEP_1)
	v_dual_add_nc_u32 v24, -1, v23 :: v_dual_add_nc_u32 v12, v6, v22
                                        ; implicit-def: $vgpr6_vgpr7
                                        ; implicit-def: $vgpr22
	v_cmpx_ne_u32_e32 0, v24
	s_xor_b32 s0, exec_lo, s0
	s_cbranch_execz .LBB8_74
; %bb.73:                               ;   in Loop: Header=BB8_15 Depth=1
	s_delay_alu instid0(VALU_DEP_2) | instskip(SKIP_2) | instid1(VALU_DEP_2)
	v_and_b32_e32 v26, 0x1000000, v12
	v_mov_b32_e32 v27, v13
	v_bfe_u32 v6, v12, 24, 1
	v_cmp_eq_u64_e32 vcc_lo, 0, v[26:27]
	s_delay_alu instid0(VALU_DEP_2)
	v_lshrrev_b64 v[6:7], v6, v[12:13]
	v_cndmask_b32_e32 v22, v23, v24, vcc_lo
.LBB8_74:                               ;   in Loop: Header=BB8_15 Depth=1
	s_and_not1_saveexec_b32 s0, s0
; %bb.75:                               ;   in Loop: Header=BB8_15 Depth=1
	v_mov_b64_e32 v[6:7], v[12:13]
	v_bfe_u32 v22, v12, 23, 1
; %bb.76:                               ;   in Loop: Header=BB8_15 Depth=1
	s_or_b32 exec_lo, exec_lo, s0
	s_delay_alu instid0(VALU_DEP_2) | instskip(NEXT) | instid1(VALU_DEP_2)
	v_lshrrev_b64 v[6:7], 20, v[6:7]
	v_cmp_gt_i32_e32 vcc_lo, 16, v22
	v_cmp_ne_u32_e64 s0, 0, v22
	s_delay_alu instid0(VALU_DEP_3) | instskip(NEXT) | instid1(VALU_DEP_1)
	v_dual_cndmask_b32 v7, 0, v7 :: v_dual_cndmask_b32 v6, 7, v6
	v_cmp_ne_u64_e32 vcc_lo, 0, v[6:7]
                                        ; implicit-def: $vgpr7
	s_or_b32 s0, s0, vcc_lo
	s_delay_alu instid0(SALU_CYCLE_1) | instskip(NEXT) | instid1(SALU_CYCLE_1)
	s_and_saveexec_b32 s1, s0
	s_xor_b32 s0, exec_lo, s1
; %bb.77:                               ;   in Loop: Header=BB8_15 Depth=1
	v_min_i32_e32 v7, 15, v22
	s_delay_alu instid0(VALU_DEP_1) | instskip(NEXT) | instid1(VALU_DEP_1)
	v_lshl_or_b32 v7, v7, 3, v17
                                        ; implicit-def: $vgpr17
	v_and_or_b32 v7, v6, 7, v7
; %bb.78:                               ;   in Loop: Header=BB8_15 Depth=1
	s_and_not1_saveexec_b32 s0, s0
; %bb.79:                               ;   in Loop: Header=BB8_15 Depth=1
	v_mov_b32_e32 v7, v17
; %bb.80:                               ;   in Loop: Header=BB8_15 Depth=1
	s_or_b32 exec_lo, exec_lo, s0
.LBB8_81:                               ;   in Loop: Header=BB8_15 Depth=1
	s_delay_alu instid0(SALU_CYCLE_1)
	s_or_b32 exec_lo, exec_lo, s6
                                        ; implicit-def: $vgpr17
.LBB8_82:                               ;   in Loop: Header=BB8_15 Depth=1
	s_and_not1_saveexec_b32 s0, s5
; %bb.83:                               ;   in Loop: Header=BB8_15 Depth=1
	v_or_b32_e32 v7, 0x7e, v17
; %bb.84:                               ;   in Loop: Header=BB8_15 Depth=1
	s_or_b32 exec_lo, exec_lo, s0
                                        ; implicit-def: $vgpr17
.LBB8_85:                               ;   in Loop: Header=BB8_15 Depth=1
	s_and_not1_saveexec_b32 s0, s4
; %bb.86:                               ;   in Loop: Header=BB8_15 Depth=1
	v_or_b32_e32 v7, 0x7f, v17
; %bb.87:                               ;   in Loop: Header=BB8_15 Depth=1
	s_or_b32 exec_lo, exec_lo, s0
	v_lshrrev_b32_e32 v6, 16, v4
	v_cvt_f32_f16_e32 v22, v4
	global_store_b8 v[2:3], v7, off offset:3
                                        ; implicit-def: $vgpr7
	s_mov_b32 s0, exec_lo
	v_cvt_f32_f16_e32 v23, v6
	s_delay_alu instid0(VALU_DEP_1) | instskip(NEXT) | instid1(VALU_DEP_1)
	v_pk_mul_f32 v[22:23], v[14:15], v[22:23]
	v_cvt_pk_f16_f32 v4, v22, v23
	s_delay_alu instid0(VALU_DEP_1) | instskip(NEXT) | instid1(VALU_DEP_1)
	v_pk_mul_f16 v4, v8, v4
	v_cvt_f32_f16_e32 v6, v4
	s_delay_alu instid0(VALU_DEP_1) | instskip(NEXT) | instid1(VALU_DEP_1)
	v_mul_f32_e32 v6, v1, v6
	v_minmax_num_f32 v6, v6, s3, 0xc3e00000
	s_delay_alu instid0(VALU_DEP_1) | instskip(SKIP_2) | instid1(VALU_DEP_2)
	v_and_b32_e32 v12, 0x7f800000, v6
	v_lshrrev_b32_e32 v8, 24, v6
	s_wait_xcnt 0x0
	v_cmpx_ne_u64_e32 0x7f800000, v[12:13]
	s_xor_b32 s4, exec_lo, s0
	s_cbranch_execz .LBB8_103
; %bb.88:                               ;   in Loop: Header=BB8_15 Depth=1
	v_and_b32_e32 v12, 0x7fffffff, v6
	v_and_b32_e32 v8, 0x80, v8
                                        ; implicit-def: $vgpr7
	s_mov_b32 s0, exec_lo
	s_delay_alu instid0(VALU_DEP_2)
	v_cmpx_gt_u64_e32 0x43e00001, v[12:13]
	s_xor_b32 s5, exec_lo, s0
	s_cbranch_execz .LBB8_100
; %bb.89:                               ;   in Loop: Header=BB8_15 Depth=1
	v_mov_b32_e32 v7, 0
	s_mov_b32 s6, exec_lo
	v_cmpx_ne_u32_e32 0, v6
	s_cbranch_execz .LBB8_99
; %bb.90:                               ;   in Loop: Header=BB8_15 Depth=1
	v_bfe_u32 v17, v6, 23, 8
	v_and_b32_e32 v6, 0x7fffff, v6
	s_delay_alu instid0(VALU_DEP_2) | instskip(SKIP_2) | instid1(VALU_DEP_3)
	v_sub_nc_u32_e64 v7, 0x79, v17 clamp
	v_cmp_eq_u32_e32 vcc_lo, 0, v17
	v_add_nc_u32_e32 v17, 0xffffff88, v17
	v_cndmask_b32_e64 v26, v7, 0x78, vcc_lo
	v_or_b32_e32 v7, 0x800000, v6
	s_delay_alu instid0(VALU_DEP_1) | instskip(NEXT) | instid1(VALU_DEP_1)
	v_cndmask_b32_e32 v12, v7, v6, vcc_lo
	v_lshrrev_b64 v[24:25], v26, v[12:13]
	v_add_nc_u32_e32 v22, 20, v26
	s_delay_alu instid0(VALU_DEP_1) | instskip(SKIP_1) | instid1(VALU_DEP_1)
	v_lshlrev_b64_e64 v[6:7], v22, -1
	v_add_nc_u32_e32 v22, 19, v26
	v_lshlrev_b64_e64 v[22:23], v22, 1
	s_delay_alu instid0(VALU_DEP_3) | instskip(NEXT) | instid1(VALU_DEP_4)
	v_bfi_b32 v7, v7, 0, 0
	v_bfi_b32 v6, v6, 0, v12
	v_and_b32_e32 v12, 0x100000, v24
	s_delay_alu instid0(VALU_DEP_2) | instskip(NEXT) | instid1(VALU_DEP_2)
	v_cmp_eq_u64_e64 s0, v[6:7], v[22:23]
	v_cmp_eq_u64_e64 s1, 0, v[12:13]
	v_cndmask_b32_e64 v6, v17, 0xffffff89, vcc_lo
	v_lshrrev_b32_e32 v7, 23, v24
                                        ; implicit-def: $vgpr17
	s_and_b32 vcc_lo, s1, s0
	s_delay_alu instid0(VALU_DEP_1) | instskip(SKIP_4) | instid1(VALU_DEP_1)
	v_add3_u32 v22, v6, v26, v7
	v_subrev_co_ci_u32_e64 v12, null, 0, v24, vcc_lo
	s_mov_b32 s0, exec_lo
	v_add_nc_u32_e32 v23, -1, v22
	v_and_b32_e32 v6, 0xfffff, v12
	v_add_nc_u32_e32 v12, v6, v24
                                        ; implicit-def: $vgpr6_vgpr7
	s_delay_alu instid0(VALU_DEP_3)
	v_cmpx_ne_u32_e32 0, v23
	s_xor_b32 s0, exec_lo, s0
	s_cbranch_execz .LBB8_92
; %bb.91:                               ;   in Loop: Header=BB8_15 Depth=1
	s_delay_alu instid0(VALU_DEP_2) | instskip(SKIP_2) | instid1(VALU_DEP_2)
	v_and_b32_e32 v24, 0x1000000, v12
	v_mov_b32_e32 v25, v13
	v_bfe_u32 v6, v12, 24, 1
	v_cmp_eq_u64_e32 vcc_lo, 0, v[24:25]
	s_delay_alu instid0(VALU_DEP_2)
	v_lshrrev_b64 v[6:7], v6, v[12:13]
	v_cndmask_b32_e32 v17, v22, v23, vcc_lo
.LBB8_92:                               ;   in Loop: Header=BB8_15 Depth=1
	s_and_not1_saveexec_b32 s0, s0
; %bb.93:                               ;   in Loop: Header=BB8_15 Depth=1
	v_mov_b64_e32 v[6:7], v[12:13]
	v_bfe_u32 v17, v12, 23, 1
; %bb.94:                               ;   in Loop: Header=BB8_15 Depth=1
	s_or_b32 exec_lo, exec_lo, s0
	s_delay_alu instid0(VALU_DEP_2) | instskip(NEXT) | instid1(VALU_DEP_2)
	v_lshrrev_b64 v[6:7], 20, v[6:7]
	v_cmp_gt_i32_e32 vcc_lo, 16, v17
	v_cmp_ne_u32_e64 s0, 0, v17
	s_delay_alu instid0(VALU_DEP_3) | instskip(NEXT) | instid1(VALU_DEP_1)
	v_dual_cndmask_b32 v7, 0, v7 :: v_dual_cndmask_b32 v6, 7, v6
	v_cmp_ne_u64_e32 vcc_lo, 0, v[6:7]
                                        ; implicit-def: $vgpr7
	s_or_b32 s0, s0, vcc_lo
	s_delay_alu instid0(SALU_CYCLE_1) | instskip(NEXT) | instid1(SALU_CYCLE_1)
	s_and_saveexec_b32 s1, s0
	s_xor_b32 s0, exec_lo, s1
; %bb.95:                               ;   in Loop: Header=BB8_15 Depth=1
	v_min_i32_e32 v7, 15, v17
	s_delay_alu instid0(VALU_DEP_1) | instskip(NEXT) | instid1(VALU_DEP_1)
	v_lshl_or_b32 v7, v7, 3, v8
                                        ; implicit-def: $vgpr8
	v_and_or_b32 v7, v6, 7, v7
; %bb.96:                               ;   in Loop: Header=BB8_15 Depth=1
	s_and_not1_saveexec_b32 s0, s0
; %bb.97:                               ;   in Loop: Header=BB8_15 Depth=1
	v_mov_b32_e32 v7, v8
; %bb.98:                               ;   in Loop: Header=BB8_15 Depth=1
	s_or_b32 exec_lo, exec_lo, s0
.LBB8_99:                               ;   in Loop: Header=BB8_15 Depth=1
	s_delay_alu instid0(SALU_CYCLE_1)
	s_or_b32 exec_lo, exec_lo, s6
                                        ; implicit-def: $vgpr8
.LBB8_100:                              ;   in Loop: Header=BB8_15 Depth=1
	s_and_not1_saveexec_b32 s0, s5
; %bb.101:                              ;   in Loop: Header=BB8_15 Depth=1
	v_or_b32_e32 v7, 0x7e, v8
; %bb.102:                              ;   in Loop: Header=BB8_15 Depth=1
	s_or_b32 exec_lo, exec_lo, s0
                                        ; implicit-def: $vgpr8
.LBB8_103:                              ;   in Loop: Header=BB8_15 Depth=1
	s_and_not1_saveexec_b32 s0, s4
; %bb.104:                              ;   in Loop: Header=BB8_15 Depth=1
	v_or_b32_e32 v7, 0x7f, v8
; %bb.105:                              ;   in Loop: Header=BB8_15 Depth=1
	s_or_b32 exec_lo, exec_lo, s0
	v_lshrrev_b32_e32 v4, 16, v4
	global_store_b8 v[2:3], v7, off offset:4
                                        ; implicit-def: $vgpr7
	s_mov_b32 s0, exec_lo
	v_cvt_f32_f16_e32 v4, v4
	s_delay_alu instid0(VALU_DEP_1) | instskip(NEXT) | instid1(VALU_DEP_1)
	v_mul_f32_e32 v4, v1, v4
	v_minmax_num_f32 v6, v4, s3, 0xc3e00000
	s_delay_alu instid0(VALU_DEP_1) | instskip(SKIP_2) | instid1(VALU_DEP_2)
	v_and_b32_e32 v12, 0x7f800000, v6
	v_lshrrev_b32_e32 v4, 24, v6
	s_wait_xcnt 0x0
	v_cmpx_ne_u64_e32 0x7f800000, v[12:13]
	s_xor_b32 s4, exec_lo, s0
	s_cbranch_execz .LBB8_121
; %bb.106:                              ;   in Loop: Header=BB8_15 Depth=1
	v_and_b32_e32 v12, 0x7fffffff, v6
	v_and_b32_e32 v4, 0x80, v4
                                        ; implicit-def: $vgpr7
	s_mov_b32 s0, exec_lo
	s_delay_alu instid0(VALU_DEP_2)
	v_cmpx_gt_u64_e32 0x43e00001, v[12:13]
	s_xor_b32 s5, exec_lo, s0
	s_cbranch_execz .LBB8_118
; %bb.107:                              ;   in Loop: Header=BB8_15 Depth=1
	v_mov_b32_e32 v7, 0
	s_mov_b32 s6, exec_lo
	v_cmpx_ne_u32_e32 0, v6
	s_cbranch_execz .LBB8_117
; %bb.108:                              ;   in Loop: Header=BB8_15 Depth=1
	v_bfe_u32 v8, v6, 23, 8
	v_and_b32_e32 v6, 0x7fffff, v6
	s_delay_alu instid0(VALU_DEP_2) | instskip(SKIP_2) | instid1(VALU_DEP_3)
	v_sub_nc_u32_e64 v7, 0x79, v8 clamp
	v_cmp_eq_u32_e32 vcc_lo, 0, v8
	v_add_nc_u32_e32 v8, 0xffffff88, v8
	v_cndmask_b32_e64 v17, v7, 0x78, vcc_lo
	v_or_b32_e32 v7, 0x800000, v6
	s_delay_alu instid0(VALU_DEP_1) | instskip(NEXT) | instid1(VALU_DEP_1)
	v_dual_add_nc_u32 v22, 20, v17 :: v_dual_cndmask_b32 v12, v7, v6, vcc_lo
	v_lshlrev_b64_e64 v[6:7], v22, -1
	s_delay_alu instid0(VALU_DEP_2) | instskip(SKIP_1) | instid1(VALU_DEP_1)
	v_lshrrev_b64 v[24:25], v17, v[12:13]
	v_add_nc_u32_e32 v22, 19, v17
	v_lshlrev_b64_e64 v[22:23], v22, 1
	s_delay_alu instid0(VALU_DEP_4) | instskip(SKIP_2) | instid1(VALU_DEP_2)
	v_bfi_b32 v7, v7, 0, 0
	v_bfi_b32 v6, v6, 0, v12
	v_and_b32_e32 v12, 0x100000, v24
	v_cmp_eq_u64_e64 s0, v[6:7], v[22:23]
	s_delay_alu instid0(VALU_DEP_2) | instskip(SKIP_3) | instid1(VALU_DEP_1)
	v_cmp_eq_u64_e64 s1, 0, v[12:13]
	v_cndmask_b32_e64 v6, v8, 0xffffff89, vcc_lo
	v_lshrrev_b32_e32 v7, 23, v24
	s_and_b32 vcc_lo, s1, s0
	v_add3_u32 v17, v6, v17, v7
	v_subrev_co_ci_u32_e64 v8, null, 0, v24, vcc_lo
	s_mov_b32 s0, exec_lo
	v_and_b32_e32 v6, 0xfffff, v8
	v_add_nc_u32_e32 v22, -1, v17
                                        ; implicit-def: $vgpr8
	s_delay_alu instid0(VALU_DEP_2) | instskip(NEXT) | instid1(VALU_DEP_2)
	v_add_nc_u32_e32 v12, v6, v24
                                        ; implicit-def: $vgpr6_vgpr7
	v_cmpx_ne_u32_e32 0, v22
	s_xor_b32 s0, exec_lo, s0
	s_cbranch_execz .LBB8_110
; %bb.109:                              ;   in Loop: Header=BB8_15 Depth=1
	s_delay_alu instid0(VALU_DEP_2) | instskip(SKIP_2) | instid1(VALU_DEP_2)
	v_and_b32_e32 v24, 0x1000000, v12
	v_mov_b32_e32 v25, v13
	v_bfe_u32 v6, v12, 24, 1
	v_cmp_eq_u64_e32 vcc_lo, 0, v[24:25]
	s_delay_alu instid0(VALU_DEP_2)
	v_lshrrev_b64 v[6:7], v6, v[12:13]
	v_cndmask_b32_e32 v8, v17, v22, vcc_lo
.LBB8_110:                              ;   in Loop: Header=BB8_15 Depth=1
	s_and_not1_saveexec_b32 s0, s0
; %bb.111:                              ;   in Loop: Header=BB8_15 Depth=1
	v_mov_b64_e32 v[6:7], v[12:13]
	v_bfe_u32 v8, v12, 23, 1
; %bb.112:                              ;   in Loop: Header=BB8_15 Depth=1
	s_or_b32 exec_lo, exec_lo, s0
	s_delay_alu instid0(VALU_DEP_2) | instskip(NEXT) | instid1(VALU_DEP_2)
	v_lshrrev_b64 v[6:7], 20, v[6:7]
	v_cmp_gt_i32_e32 vcc_lo, 16, v8
	v_cmp_ne_u32_e64 s0, 0, v8
	s_delay_alu instid0(VALU_DEP_3) | instskip(NEXT) | instid1(VALU_DEP_1)
	v_dual_cndmask_b32 v7, 0, v7 :: v_dual_cndmask_b32 v6, 7, v6
	v_cmp_ne_u64_e32 vcc_lo, 0, v[6:7]
                                        ; implicit-def: $vgpr7
	s_or_b32 s0, s0, vcc_lo
	s_delay_alu instid0(SALU_CYCLE_1) | instskip(NEXT) | instid1(SALU_CYCLE_1)
	s_and_saveexec_b32 s1, s0
	s_xor_b32 s0, exec_lo, s1
; %bb.113:                              ;   in Loop: Header=BB8_15 Depth=1
	v_min_i32_e32 v7, 15, v8
	s_delay_alu instid0(VALU_DEP_1) | instskip(NEXT) | instid1(VALU_DEP_1)
	v_lshl_or_b32 v4, v7, 3, v4
	v_and_or_b32 v7, v6, 7, v4
                                        ; implicit-def: $vgpr4
; %bb.114:                              ;   in Loop: Header=BB8_15 Depth=1
	s_and_not1_saveexec_b32 s0, s0
; %bb.115:                              ;   in Loop: Header=BB8_15 Depth=1
	v_mov_b32_e32 v7, v4
; %bb.116:                              ;   in Loop: Header=BB8_15 Depth=1
	s_or_b32 exec_lo, exec_lo, s0
.LBB8_117:                              ;   in Loop: Header=BB8_15 Depth=1
	s_delay_alu instid0(SALU_CYCLE_1)
	s_or_b32 exec_lo, exec_lo, s6
                                        ; implicit-def: $vgpr4
.LBB8_118:                              ;   in Loop: Header=BB8_15 Depth=1
	s_and_not1_saveexec_b32 s0, s5
; %bb.119:                              ;   in Loop: Header=BB8_15 Depth=1
	v_or_b32_e32 v7, 0x7e, v4
; %bb.120:                              ;   in Loop: Header=BB8_15 Depth=1
	s_or_b32 exec_lo, exec_lo, s0
                                        ; implicit-def: $vgpr4
.LBB8_121:                              ;   in Loop: Header=BB8_15 Depth=1
	s_and_not1_saveexec_b32 s0, s4
; %bb.122:                              ;   in Loop: Header=BB8_15 Depth=1
	v_or_b32_e32 v7, 0x7f, v4
; %bb.123:                              ;   in Loop: Header=BB8_15 Depth=1
	s_or_b32 exec_lo, exec_lo, s0
	v_lshrrev_b32_e32 v4, 16, v5
	v_cvt_f32_f16_e32 v22, v5
	global_store_b8 v[2:3], v7, off offset:5
	s_mov_b32 s0, exec_lo
	v_cvt_f32_f16_e32 v23, v4
	s_delay_alu instid0(VALU_DEP_1) | instskip(NEXT) | instid1(VALU_DEP_1)
	v_pk_mul_f32 v[4:5], v[14:15], v[22:23]
	v_cvt_pk_f16_f32 v4, v4, v5
                                        ; implicit-def: $vgpr5
	s_delay_alu instid0(VALU_DEP_1) | instskip(NEXT) | instid1(VALU_DEP_1)
	v_pk_mul_f16 v6, v9, v4
	v_cvt_f32_f16_e32 v4, v6
	s_delay_alu instid0(VALU_DEP_1) | instskip(NEXT) | instid1(VALU_DEP_1)
	v_mul_f32_e32 v4, v1, v4
	v_minmax_num_f32 v4, v4, s3, 0xc3e00000
	s_delay_alu instid0(VALU_DEP_1) | instskip(SKIP_2) | instid1(VALU_DEP_2)
	v_and_b32_e32 v12, 0x7f800000, v4
	v_lshrrev_b32_e32 v8, 24, v4
	s_wait_xcnt 0x0
	v_cmpx_ne_u64_e32 0x7f800000, v[12:13]
	s_xor_b32 s4, exec_lo, s0
	s_cbranch_execz .LBB8_139
; %bb.124:                              ;   in Loop: Header=BB8_15 Depth=1
	v_and_b32_e32 v12, 0x7fffffff, v4
	v_and_b32_e32 v7, 0x80, v8
                                        ; implicit-def: $vgpr5
	s_mov_b32 s0, exec_lo
	s_delay_alu instid0(VALU_DEP_2)
	v_cmpx_gt_u64_e32 0x43e00001, v[12:13]
	s_xor_b32 s5, exec_lo, s0
	s_cbranch_execz .LBB8_136
; %bb.125:                              ;   in Loop: Header=BB8_15 Depth=1
	v_mov_b32_e32 v5, 0
	s_mov_b32 s6, exec_lo
	v_cmpx_ne_u32_e32 0, v4
	s_cbranch_execz .LBB8_135
; %bb.126:                              ;   in Loop: Header=BB8_15 Depth=1
	v_bfe_u32 v17, v4, 23, 8
	v_and_b32_e32 v4, 0x7fffff, v4
	s_delay_alu instid0(VALU_DEP_2) | instskip(SKIP_1) | instid1(VALU_DEP_2)
	v_sub_nc_u32_e64 v5, 0x79, v17 clamp
	v_cmp_eq_u32_e32 vcc_lo, 0, v17
	v_cndmask_b32_e64 v24, v5, 0x78, vcc_lo
	s_delay_alu instid0(VALU_DEP_4) | instskip(NEXT) | instid1(VALU_DEP_2)
	v_or_b32_e32 v5, 0x800000, v4
	v_dual_add_nc_u32 v8, 20, v24 :: v_dual_add_nc_u32 v22, 19, v24
	s_delay_alu instid0(VALU_DEP_2) | instskip(NEXT) | instid1(VALU_DEP_2)
	v_cndmask_b32_e32 v12, v5, v4, vcc_lo
	v_lshlrev_b64_e64 v[4:5], v8, -1
	s_delay_alu instid0(VALU_DEP_3) | instskip(NEXT) | instid1(VALU_DEP_3)
	v_lshlrev_b64_e64 v[22:23], v22, 1
	v_lshrrev_b64 v[8:9], v24, v[12:13]
	v_add_nc_u32_e32 v9, 0xffffff88, v17
	s_delay_alu instid0(VALU_DEP_4) | instskip(SKIP_1) | instid1(VALU_DEP_4)
	v_bfi_b32 v5, v5, 0, 0
	v_bfi_b32 v4, v4, 0, v12
	v_and_b32_e32 v12, 0x100000, v8
	s_delay_alu instid0(VALU_DEP_2) | instskip(NEXT) | instid1(VALU_DEP_2)
	v_cmp_eq_u64_e64 s0, v[4:5], v[22:23]
	v_cmp_eq_u64_e64 s1, 0, v[12:13]
	v_cndmask_b32_e64 v4, v9, 0xffffff89, vcc_lo
	v_lshrrev_b32_e32 v5, 23, v8
	s_delay_alu instid0(VALU_DEP_1) | instskip(SKIP_3) | instid1(VALU_DEP_2)
	v_add3_u32 v9, v4, v24, v5
	s_and_b32 vcc_lo, s1, s0
	s_mov_b32 s0, exec_lo
	v_subrev_co_ci_u32_e64 v12, null, 0, v8, vcc_lo
	v_add_nc_u32_e32 v17, -1, v9
	s_delay_alu instid0(VALU_DEP_2) | instskip(NEXT) | instid1(VALU_DEP_1)
	v_and_b32_e32 v4, 0xfffff, v12
	v_add_nc_u32_e32 v12, v4, v8
                                        ; implicit-def: $vgpr4_vgpr5
                                        ; implicit-def: $vgpr8
	s_delay_alu instid0(VALU_DEP_3)
	v_cmpx_ne_u32_e32 0, v17
	s_xor_b32 s0, exec_lo, s0
	s_cbranch_execz .LBB8_128
; %bb.127:                              ;   in Loop: Header=BB8_15 Depth=1
	s_delay_alu instid0(VALU_DEP_2) | instskip(SKIP_2) | instid1(VALU_DEP_2)
	v_and_b32_e32 v22, 0x1000000, v12
	v_mov_b32_e32 v23, v13
	v_bfe_u32 v4, v12, 24, 1
	v_cmp_eq_u64_e32 vcc_lo, 0, v[22:23]
	s_delay_alu instid0(VALU_DEP_2)
	v_lshrrev_b64 v[4:5], v4, v[12:13]
	v_cndmask_b32_e32 v8, v9, v17, vcc_lo
.LBB8_128:                              ;   in Loop: Header=BB8_15 Depth=1
	s_and_not1_saveexec_b32 s0, s0
; %bb.129:                              ;   in Loop: Header=BB8_15 Depth=1
	v_mov_b64_e32 v[4:5], v[12:13]
	v_bfe_u32 v8, v12, 23, 1
; %bb.130:                              ;   in Loop: Header=BB8_15 Depth=1
	s_or_b32 exec_lo, exec_lo, s0
	s_delay_alu instid0(VALU_DEP_2) | instskip(NEXT) | instid1(VALU_DEP_2)
	v_lshrrev_b64 v[4:5], 20, v[4:5]
	v_cmp_gt_i32_e32 vcc_lo, 16, v8
	v_cmp_ne_u32_e64 s0, 0, v8
	s_delay_alu instid0(VALU_DEP_3) | instskip(NEXT) | instid1(VALU_DEP_1)
	v_dual_cndmask_b32 v5, 0, v5 :: v_dual_cndmask_b32 v4, 7, v4
	v_cmp_ne_u64_e32 vcc_lo, 0, v[4:5]
                                        ; implicit-def: $vgpr5
	s_or_b32 s0, s0, vcc_lo
	s_delay_alu instid0(SALU_CYCLE_1) | instskip(NEXT) | instid1(SALU_CYCLE_1)
	s_and_saveexec_b32 s1, s0
	s_xor_b32 s0, exec_lo, s1
; %bb.131:                              ;   in Loop: Header=BB8_15 Depth=1
	v_min_i32_e32 v5, 15, v8
	s_delay_alu instid0(VALU_DEP_1) | instskip(NEXT) | instid1(VALU_DEP_1)
	v_lshl_or_b32 v5, v5, 3, v7
                                        ; implicit-def: $vgpr7
	v_and_or_b32 v5, v4, 7, v5
; %bb.132:                              ;   in Loop: Header=BB8_15 Depth=1
	s_and_not1_saveexec_b32 s0, s0
; %bb.133:                              ;   in Loop: Header=BB8_15 Depth=1
	v_mov_b32_e32 v5, v7
; %bb.134:                              ;   in Loop: Header=BB8_15 Depth=1
	s_or_b32 exec_lo, exec_lo, s0
.LBB8_135:                              ;   in Loop: Header=BB8_15 Depth=1
	s_delay_alu instid0(SALU_CYCLE_1)
	s_or_b32 exec_lo, exec_lo, s6
                                        ; implicit-def: $vgpr7
.LBB8_136:                              ;   in Loop: Header=BB8_15 Depth=1
	s_and_not1_saveexec_b32 s0, s5
; %bb.137:                              ;   in Loop: Header=BB8_15 Depth=1
	v_or_b32_e32 v5, 0x7e, v7
; %bb.138:                              ;   in Loop: Header=BB8_15 Depth=1
	s_or_b32 exec_lo, exec_lo, s0
                                        ; implicit-def: $vgpr8
.LBB8_139:                              ;   in Loop: Header=BB8_15 Depth=1
	s_and_not1_saveexec_b32 s0, s4
; %bb.140:                              ;   in Loop: Header=BB8_15 Depth=1
	v_or_b32_e32 v5, 0x7f, v8
; %bb.141:                              ;   in Loop: Header=BB8_15 Depth=1
	s_or_b32 exec_lo, exec_lo, s0
	v_lshrrev_b32_e32 v4, 16, v6
	global_store_b8 v[2:3], v5, off offset:6
                                        ; implicit-def: $vgpr5
	s_mov_b32 s0, exec_lo
	v_cvt_f32_f16_e32 v4, v4
	s_delay_alu instid0(VALU_DEP_1) | instskip(NEXT) | instid1(VALU_DEP_1)
	v_mul_f32_e32 v4, v1, v4
	v_minmax_num_f32 v4, v4, s3, 0xc3e00000
	s_delay_alu instid0(VALU_DEP_1) | instskip(SKIP_2) | instid1(VALU_DEP_2)
	v_and_b32_e32 v12, 0x7f800000, v4
	v_lshrrev_b32_e32 v6, 24, v4
	s_wait_xcnt 0x0
	v_cmpx_ne_u64_e32 0x7f800000, v[12:13]
	s_xor_b32 s4, exec_lo, s0
	s_cbranch_execz .LBB8_157
; %bb.142:                              ;   in Loop: Header=BB8_15 Depth=1
	v_and_b32_e32 v12, 0x7fffffff, v4
	v_and_b32_e32 v6, 0x80, v6
                                        ; implicit-def: $vgpr5
	s_mov_b32 s0, exec_lo
	s_delay_alu instid0(VALU_DEP_2)
	v_cmpx_gt_u64_e32 0x43e00001, v[12:13]
	s_xor_b32 s5, exec_lo, s0
	s_cbranch_execz .LBB8_154
; %bb.143:                              ;   in Loop: Header=BB8_15 Depth=1
	v_mov_b32_e32 v5, 0
	s_mov_b32 s6, exec_lo
	v_cmpx_ne_u32_e32 0, v4
	s_cbranch_execz .LBB8_153
; %bb.144:                              ;   in Loop: Header=BB8_15 Depth=1
	v_bfe_u32 v7, v4, 23, 8
	v_and_b32_e32 v4, 0x7fffff, v4
	s_delay_alu instid0(VALU_DEP_2) | instskip(SKIP_2) | instid1(VALU_DEP_3)
	v_sub_nc_u32_e64 v5, 0x79, v7 clamp
	v_cmp_eq_u32_e32 vcc_lo, 0, v7
	v_add_nc_u32_e32 v7, 0xffffff88, v7
	v_cndmask_b32_e64 v17, v5, 0x78, vcc_lo
	v_or_b32_e32 v5, 0x800000, v4
	s_delay_alu instid0(VALU_DEP_1) | instskip(NEXT) | instid1(VALU_DEP_1)
	v_dual_add_nc_u32 v8, 20, v17 :: v_dual_cndmask_b32 v12, v5, v4, vcc_lo
	v_lshlrev_b64_e64 v[4:5], v8, -1
	s_delay_alu instid0(VALU_DEP_2) | instskip(SKIP_1) | instid1(VALU_DEP_1)
	v_lshrrev_b64 v[22:23], v17, v[12:13]
	v_add_nc_u32_e32 v8, 19, v17
	v_lshlrev_b64_e64 v[8:9], v8, 1
	s_delay_alu instid0(VALU_DEP_4) | instskip(SKIP_2) | instid1(VALU_DEP_2)
	v_bfi_b32 v5, v5, 0, 0
	v_bfi_b32 v4, v4, 0, v12
	v_and_b32_e32 v12, 0x100000, v22
	v_cmp_eq_u64_e64 s0, v[4:5], v[8:9]
	s_delay_alu instid0(VALU_DEP_2) | instskip(SKIP_3) | instid1(VALU_DEP_1)
	v_cmp_eq_u64_e64 s1, 0, v[12:13]
	v_cndmask_b32_e64 v4, v7, 0xffffff89, vcc_lo
	v_lshrrev_b32_e32 v5, 23, v22
	s_and_b32 vcc_lo, s1, s0
	v_add3_u32 v8, v4, v17, v5
	v_subrev_co_ci_u32_e64 v7, null, 0, v22, vcc_lo
	s_mov_b32 s0, exec_lo
	v_and_b32_e32 v4, 0xfffff, v7
	v_add_nc_u32_e32 v9, -1, v8
                                        ; implicit-def: $vgpr7
	s_delay_alu instid0(VALU_DEP_2) | instskip(NEXT) | instid1(VALU_DEP_2)
	v_add_nc_u32_e32 v12, v4, v22
                                        ; implicit-def: $vgpr4_vgpr5
	v_cmpx_ne_u32_e32 0, v9
	s_xor_b32 s0, exec_lo, s0
	s_cbranch_execz .LBB8_146
; %bb.145:                              ;   in Loop: Header=BB8_15 Depth=1
	s_delay_alu instid0(VALU_DEP_2) | instskip(SKIP_2) | instid1(VALU_DEP_2)
	v_and_b32_e32 v22, 0x1000000, v12
	v_mov_b32_e32 v23, v13
	v_bfe_u32 v4, v12, 24, 1
	v_cmp_eq_u64_e32 vcc_lo, 0, v[22:23]
	s_delay_alu instid0(VALU_DEP_2)
	v_lshrrev_b64 v[4:5], v4, v[12:13]
	v_cndmask_b32_e32 v7, v8, v9, vcc_lo
.LBB8_146:                              ;   in Loop: Header=BB8_15 Depth=1
	s_and_not1_saveexec_b32 s0, s0
; %bb.147:                              ;   in Loop: Header=BB8_15 Depth=1
	v_mov_b64_e32 v[4:5], v[12:13]
	v_bfe_u32 v7, v12, 23, 1
; %bb.148:                              ;   in Loop: Header=BB8_15 Depth=1
	s_or_b32 exec_lo, exec_lo, s0
	s_delay_alu instid0(VALU_DEP_2) | instskip(NEXT) | instid1(VALU_DEP_2)
	v_lshrrev_b64 v[4:5], 20, v[4:5]
	v_cmp_gt_i32_e32 vcc_lo, 16, v7
	v_cmp_ne_u32_e64 s0, 0, v7
	s_delay_alu instid0(VALU_DEP_3) | instskip(NEXT) | instid1(VALU_DEP_1)
	v_dual_cndmask_b32 v5, 0, v5 :: v_dual_cndmask_b32 v4, 7, v4
	v_cmp_ne_u64_e32 vcc_lo, 0, v[4:5]
                                        ; implicit-def: $vgpr5
	s_or_b32 s0, s0, vcc_lo
	s_delay_alu instid0(SALU_CYCLE_1) | instskip(NEXT) | instid1(SALU_CYCLE_1)
	s_and_saveexec_b32 s1, s0
	s_xor_b32 s0, exec_lo, s1
; %bb.149:                              ;   in Loop: Header=BB8_15 Depth=1
	v_min_i32_e32 v5, 15, v7
	s_delay_alu instid0(VALU_DEP_1) | instskip(NEXT) | instid1(VALU_DEP_1)
	v_lshl_or_b32 v5, v5, 3, v6
                                        ; implicit-def: $vgpr6
	v_and_or_b32 v5, v4, 7, v5
; %bb.150:                              ;   in Loop: Header=BB8_15 Depth=1
	s_and_not1_saveexec_b32 s0, s0
; %bb.151:                              ;   in Loop: Header=BB8_15 Depth=1
	v_mov_b32_e32 v5, v6
; %bb.152:                              ;   in Loop: Header=BB8_15 Depth=1
	s_or_b32 exec_lo, exec_lo, s0
.LBB8_153:                              ;   in Loop: Header=BB8_15 Depth=1
	s_delay_alu instid0(SALU_CYCLE_1)
	s_or_b32 exec_lo, exec_lo, s6
                                        ; implicit-def: $vgpr6
.LBB8_154:                              ;   in Loop: Header=BB8_15 Depth=1
	s_and_not1_saveexec_b32 s0, s5
; %bb.155:                              ;   in Loop: Header=BB8_15 Depth=1
	v_or_b32_e32 v5, 0x7e, v6
; %bb.156:                              ;   in Loop: Header=BB8_15 Depth=1
	s_or_b32 exec_lo, exec_lo, s0
                                        ; implicit-def: $vgpr6
.LBB8_157:                              ;   in Loop: Header=BB8_15 Depth=1
	s_and_not1_saveexec_b32 s0, s4
	s_cbranch_execz .LBB8_14
; %bb.158:                              ;   in Loop: Header=BB8_15 Depth=1
	v_or_b32_e32 v5, 0x7f, v6
	s_branch .LBB8_14
.LBB8_159:
	s_endpgm
	.section	.rodata,"a",@progbits
	.p2align	6, 0x0
	.amdhsa_kernel _ZN4vllm42fused_add_rms_norm_static_fp8_quant_kernelIN3c104HalfELi8ENS1_13Float8_e4m3fnEEENSt9enable_ifIXaagtT0_Li0Esr12_typeConvertIT_EE6existsEvE4typeEPT1_PS5_iSA_PKS5_PKffii
		.amdhsa_group_segment_fixed_size 68
		.amdhsa_private_segment_fixed_size 0
		.amdhsa_kernarg_size 320
		.amdhsa_user_sgpr_count 2
		.amdhsa_user_sgpr_dispatch_ptr 0
		.amdhsa_user_sgpr_queue_ptr 0
		.amdhsa_user_sgpr_kernarg_segment_ptr 1
		.amdhsa_user_sgpr_dispatch_id 0
		.amdhsa_user_sgpr_kernarg_preload_length 0
		.amdhsa_user_sgpr_kernarg_preload_offset 0
		.amdhsa_user_sgpr_private_segment_size 0
		.amdhsa_wavefront_size32 1
		.amdhsa_uses_dynamic_stack 0
		.amdhsa_enable_private_segment 0
		.amdhsa_system_sgpr_workgroup_id_x 1
		.amdhsa_system_sgpr_workgroup_id_y 0
		.amdhsa_system_sgpr_workgroup_id_z 0
		.amdhsa_system_sgpr_workgroup_info 0
		.amdhsa_system_vgpr_workitem_id 0
		.amdhsa_next_free_vgpr 29
		.amdhsa_next_free_sgpr 19
		.amdhsa_named_barrier_count 0
		.amdhsa_reserve_vcc 1
		.amdhsa_float_round_mode_32 0
		.amdhsa_float_round_mode_16_64 0
		.amdhsa_float_denorm_mode_32 3
		.amdhsa_float_denorm_mode_16_64 3
		.amdhsa_fp16_overflow 0
		.amdhsa_memory_ordered 1
		.amdhsa_forward_progress 1
		.amdhsa_inst_pref_size 50
		.amdhsa_round_robin_scheduling 0
		.amdhsa_exception_fp_ieee_invalid_op 0
		.amdhsa_exception_fp_denorm_src 0
		.amdhsa_exception_fp_ieee_div_zero 0
		.amdhsa_exception_fp_ieee_overflow 0
		.amdhsa_exception_fp_ieee_underflow 0
		.amdhsa_exception_fp_ieee_inexact 0
		.amdhsa_exception_int_div_zero 0
	.end_amdhsa_kernel
	.section	.text._ZN4vllm42fused_add_rms_norm_static_fp8_quant_kernelIN3c104HalfELi8ENS1_13Float8_e4m3fnEEENSt9enable_ifIXaagtT0_Li0Esr12_typeConvertIT_EE6existsEvE4typeEPT1_PS5_iSA_PKS5_PKffii,"axG",@progbits,_ZN4vllm42fused_add_rms_norm_static_fp8_quant_kernelIN3c104HalfELi8ENS1_13Float8_e4m3fnEEENSt9enable_ifIXaagtT0_Li0Esr12_typeConvertIT_EE6existsEvE4typeEPT1_PS5_iSA_PKS5_PKffii,comdat
.Lfunc_end8:
	.size	_ZN4vllm42fused_add_rms_norm_static_fp8_quant_kernelIN3c104HalfELi8ENS1_13Float8_e4m3fnEEENSt9enable_ifIXaagtT0_Li0Esr12_typeConvertIT_EE6existsEvE4typeEPT1_PS5_iSA_PKS5_PKffii, .Lfunc_end8-_ZN4vllm42fused_add_rms_norm_static_fp8_quant_kernelIN3c104HalfELi8ENS1_13Float8_e4m3fnEEENSt9enable_ifIXaagtT0_Li0Esr12_typeConvertIT_EE6existsEvE4typeEPT1_PS5_iSA_PKS5_PKffii
                                        ; -- End function
	.set _ZN4vllm42fused_add_rms_norm_static_fp8_quant_kernelIN3c104HalfELi8ENS1_13Float8_e4m3fnEEENSt9enable_ifIXaagtT0_Li0Esr12_typeConvertIT_EE6existsEvE4typeEPT1_PS5_iSA_PKS5_PKffii.num_vgpr, 29
	.set _ZN4vllm42fused_add_rms_norm_static_fp8_quant_kernelIN3c104HalfELi8ENS1_13Float8_e4m3fnEEENSt9enable_ifIXaagtT0_Li0Esr12_typeConvertIT_EE6existsEvE4typeEPT1_PS5_iSA_PKS5_PKffii.num_agpr, 0
	.set _ZN4vllm42fused_add_rms_norm_static_fp8_quant_kernelIN3c104HalfELi8ENS1_13Float8_e4m3fnEEENSt9enable_ifIXaagtT0_Li0Esr12_typeConvertIT_EE6existsEvE4typeEPT1_PS5_iSA_PKS5_PKffii.numbered_sgpr, 19
	.set _ZN4vllm42fused_add_rms_norm_static_fp8_quant_kernelIN3c104HalfELi8ENS1_13Float8_e4m3fnEEENSt9enable_ifIXaagtT0_Li0Esr12_typeConvertIT_EE6existsEvE4typeEPT1_PS5_iSA_PKS5_PKffii.num_named_barrier, 0
	.set _ZN4vllm42fused_add_rms_norm_static_fp8_quant_kernelIN3c104HalfELi8ENS1_13Float8_e4m3fnEEENSt9enable_ifIXaagtT0_Li0Esr12_typeConvertIT_EE6existsEvE4typeEPT1_PS5_iSA_PKS5_PKffii.private_seg_size, 0
	.set _ZN4vllm42fused_add_rms_norm_static_fp8_quant_kernelIN3c104HalfELi8ENS1_13Float8_e4m3fnEEENSt9enable_ifIXaagtT0_Li0Esr12_typeConvertIT_EE6existsEvE4typeEPT1_PS5_iSA_PKS5_PKffii.uses_vcc, 1
	.set _ZN4vllm42fused_add_rms_norm_static_fp8_quant_kernelIN3c104HalfELi8ENS1_13Float8_e4m3fnEEENSt9enable_ifIXaagtT0_Li0Esr12_typeConvertIT_EE6existsEvE4typeEPT1_PS5_iSA_PKS5_PKffii.uses_flat_scratch, 0
	.set _ZN4vllm42fused_add_rms_norm_static_fp8_quant_kernelIN3c104HalfELi8ENS1_13Float8_e4m3fnEEENSt9enable_ifIXaagtT0_Li0Esr12_typeConvertIT_EE6existsEvE4typeEPT1_PS5_iSA_PKS5_PKffii.has_dyn_sized_stack, 0
	.set _ZN4vllm42fused_add_rms_norm_static_fp8_quant_kernelIN3c104HalfELi8ENS1_13Float8_e4m3fnEEENSt9enable_ifIXaagtT0_Li0Esr12_typeConvertIT_EE6existsEvE4typeEPT1_PS5_iSA_PKS5_PKffii.has_recursion, 0
	.set _ZN4vllm42fused_add_rms_norm_static_fp8_quant_kernelIN3c104HalfELi8ENS1_13Float8_e4m3fnEEENSt9enable_ifIXaagtT0_Li0Esr12_typeConvertIT_EE6existsEvE4typeEPT1_PS5_iSA_PKS5_PKffii.has_indirect_call, 0
	.section	.AMDGPU.csdata,"",@progbits
; Kernel info:
; codeLenInByte = 6388
; TotalNumSgprs: 21
; NumVgprs: 29
; ScratchSize: 0
; MemoryBound: 0
; FloatMode: 240
; IeeeMode: 1
; LDSByteSize: 68 bytes/workgroup (compile time only)
; SGPRBlocks: 0
; VGPRBlocks: 1
; NumSGPRsForWavesPerEU: 21
; NumVGPRsForWavesPerEU: 29
; NamedBarCnt: 0
; Occupancy: 16
; WaveLimiterHint : 0
; COMPUTE_PGM_RSRC2:SCRATCH_EN: 0
; COMPUTE_PGM_RSRC2:USER_SGPR: 2
; COMPUTE_PGM_RSRC2:TRAP_HANDLER: 0
; COMPUTE_PGM_RSRC2:TGID_X_EN: 1
; COMPUTE_PGM_RSRC2:TGID_Y_EN: 0
; COMPUTE_PGM_RSRC2:TGID_Z_EN: 0
; COMPUTE_PGM_RSRC2:TIDIG_COMP_CNT: 0
	.section	.text._ZN4vllm42fused_add_rms_norm_static_fp8_quant_kernelIN3c104HalfELi8ENS1_15Float8_e4m3fnuzEEENSt9enable_ifIXaagtT0_Li0Esr12_typeConvertIT_EE6existsEvE4typeEPT1_PS5_iSA_PKS5_PKffii,"axG",@progbits,_ZN4vllm42fused_add_rms_norm_static_fp8_quant_kernelIN3c104HalfELi8ENS1_15Float8_e4m3fnuzEEENSt9enable_ifIXaagtT0_Li0Esr12_typeConvertIT_EE6existsEvE4typeEPT1_PS5_iSA_PKS5_PKffii,comdat
	.protected	_ZN4vllm42fused_add_rms_norm_static_fp8_quant_kernelIN3c104HalfELi8ENS1_15Float8_e4m3fnuzEEENSt9enable_ifIXaagtT0_Li0Esr12_typeConvertIT_EE6existsEvE4typeEPT1_PS5_iSA_PKS5_PKffii ; -- Begin function _ZN4vllm42fused_add_rms_norm_static_fp8_quant_kernelIN3c104HalfELi8ENS1_15Float8_e4m3fnuzEEENSt9enable_ifIXaagtT0_Li0Esr12_typeConvertIT_EE6existsEvE4typeEPT1_PS5_iSA_PKS5_PKffii
	.globl	_ZN4vllm42fused_add_rms_norm_static_fp8_quant_kernelIN3c104HalfELi8ENS1_15Float8_e4m3fnuzEEENSt9enable_ifIXaagtT0_Li0Esr12_typeConvertIT_EE6existsEvE4typeEPT1_PS5_iSA_PKS5_PKffii
	.p2align	8
	.type	_ZN4vllm42fused_add_rms_norm_static_fp8_quant_kernelIN3c104HalfELi8ENS1_15Float8_e4m3fnuzEEENSt9enable_ifIXaagtT0_Li0Esr12_typeConvertIT_EE6existsEvE4typeEPT1_PS5_iSA_PKS5_PKffii,@function
_ZN4vllm42fused_add_rms_norm_static_fp8_quant_kernelIN3c104HalfELi8ENS1_15Float8_e4m3fnuzEEENSt9enable_ifIXaagtT0_Li0Esr12_typeConvertIT_EE6existsEvE4typeEPT1_PS5_iSA_PKS5_PKffii: ; @_ZN4vllm42fused_add_rms_norm_static_fp8_quant_kernelIN3c104HalfELi8ENS1_15Float8_e4m3fnuzEEENSt9enable_ifIXaagtT0_Li0Esr12_typeConvertIT_EE6existsEvE4typeEPT1_PS5_iSA_PKS5_PKffii
; %bb.0:
	s_clause 0x1
	s_load_b32 s15, s[0:1], 0x38
	s_load_b64 s[8:9], s[0:1], 0x18
	s_bfe_u32 s4, ttmp6, 0x4000c
	s_and_b32 s3, ttmp6, 15
	s_add_co_i32 s4, s4, 1
	s_getreg_b32 s5, hwreg(HW_REG_IB_STS2, 6, 4)
	s_mul_i32 s4, ttmp9, s4
	s_delay_alu instid0(SALU_CYCLE_1) | instskip(SKIP_2) | instid1(SALU_CYCLE_1)
	s_add_co_i32 s3, s3, s4
                                        ; implicit-def: $sgpr4
	s_wait_kmcnt 0x0
	s_ashr_i32 s2, s15, 31
	s_lshr_b32 s2, s2, 29
	s_delay_alu instid0(SALU_CYCLE_1) | instskip(NEXT) | instid1(SALU_CYCLE_1)
	s_add_co_i32 s2, s15, s2
	s_ashr_i32 s7, s2, 3
	s_cmp_eq_u32 s5, 0
	v_cmp_gt_i32_e64 s2, s7, v0
	s_cselect_b32 s16, ttmp9, s3
	s_mov_b32 s3, exec_lo
	v_cmpx_le_i32_e64 s7, v0
	s_xor_b32 s3, exec_lo, s3
	s_cbranch_execz .LBB9_2
; %bb.1:
	s_load_b32 s4, s[0:1], 0x4c
	s_wait_kmcnt 0x0
	s_and_b32 s4, s4, 0xffff
.LBB9_2:
	s_or_saveexec_b32 s3, s3
	s_clause 0x1
	s_load_b64 s[10:11], s[0:1], 0x0
	s_load_b64 s[12:13], s[0:1], 0x28
	v_dual_mov_b32 v2, 0 :: v_dual_mov_b32 v10, s4
	s_mul_i32 s14, s7, s16
	s_xor_b32 exec_lo, exec_lo, s3
	s_cbranch_execz .LBB9_6
; %bb.3:
	s_clause 0x1
	s_load_b96 s[4:6], s[0:1], 0x8
	s_load_b32 s17, s[0:1], 0x4c
	v_dual_mov_b32 v2, 0 :: v_dual_mov_b32 v1, v0
	s_wait_kmcnt 0x0
	s_ashr_i32 s18, s6, 31
	s_delay_alu instid0(SALU_CYCLE_1) | instskip(NEXT) | instid1(SALU_CYCLE_1)
	s_lshr_b32 s18, s18, 29
	s_add_co_i32 s6, s6, s18
	s_delay_alu instid0(SALU_CYCLE_1)
	s_ashr_i32 s18, s6, 3
	s_and_b32 s6, s17, 0xffff
	s_mul_i32 s17, s18, s16
	s_mov_b32 s16, 0
.LBB9_4:                                ; =>This Inner Loop Header: Depth=1
	v_dual_add_nc_u32 v3, s17, v1 :: v_dual_add_nc_u32 v16, s14, v1
	global_load_b128 v[4:7], v3, s[4:5] scale_offset
	global_load_b128 v[8:11], v16, s[8:9] scale_offset
	v_add_nc_u32_e32 v1, s6, v1
	s_delay_alu instid0(VALU_DEP_1)
	v_cmp_le_i32_e32 vcc_lo, s7, v1
	s_or_b32 s16, vcc_lo, s16
	s_wait_loadcnt 0x0
	v_pk_add_f16 v5, v5, v9
	v_pk_add_f16 v4, v4, v8
	;; [unrolled: 1-line block ×4, first 2 shown]
	s_wait_xcnt 0x1
	s_delay_alu instid0(VALU_DEP_3) | instskip(NEXT) | instid1(VALU_DEP_2)
	v_dual_lshrrev_b32 v3, 16, v5 :: v_dual_lshrrev_b32 v8, 16, v4
	v_dual_lshrrev_b32 v12, 16, v7 :: v_dual_lshrrev_b32 v14, 16, v6
	v_cvt_f32_f16_e32 v11, v5
	s_delay_alu instid0(VALU_DEP_3) | instskip(NEXT) | instid1(VALU_DEP_4)
	v_cvt_f32_f16_e32 v9, v3
	v_cvt_f32_f16_e32 v8, v8
	;; [unrolled: 1-line block ×6, first 2 shown]
	v_pk_mul_f32 v[8:9], v[8:9], v[8:9]
	v_cvt_f32_f16_e32 v14, v6
	global_store_b128 v16, v[4:7], s[8:9] scale_offset
	v_pk_mul_f32 v[12:13], v[12:13], v[12:13]
	v_pk_fma_f32 v[8:9], v[10:11], v[10:11], v[8:9]
	s_delay_alu instid0(VALU_DEP_2) | instskip(NEXT) | instid1(VALU_DEP_2)
	v_pk_fma_f32 v[10:11], v[14:15], v[14:15], v[12:13]
	v_add_f32_e32 v3, v8, v9
	s_delay_alu instid0(VALU_DEP_1) | instskip(NEXT) | instid1(VALU_DEP_1)
	v_add_f32_e32 v3, v3, v10
	v_add_f32_e32 v3, v3, v11
	s_delay_alu instid0(VALU_DEP_1)
	v_add_f32_e32 v2, v2, v3
	s_wait_xcnt 0x0
	s_and_not1_b32 exec_lo, exec_lo, s16
	s_cbranch_execnz .LBB9_4
; %bb.5:
	s_or_b32 exec_lo, exec_lo, s16
	v_mov_b32_e32 v10, s6
.LBB9_6:
	s_or_b32 exec_lo, exec_lo, s3
	v_mbcnt_lo_u32_b32 v1, -1, 0
	v_and_b32_e32 v4, 0x3c0, v0
	s_load_b64 s[4:5], s[0:1], 0x20
	s_mov_b32 s3, exec_lo
	s_delay_alu instid0(VALU_DEP_2) | instskip(NEXT) | instid1(VALU_DEP_2)
	v_cmp_ne_u32_e32 vcc_lo, 63, v1
	v_sub_nc_u32_e64 v4, v10, v4 clamp
	v_add_nc_u32_e32 v6, 1, v1
	v_add_co_ci_u32_e64 v3, null, 0, v1, vcc_lo
	v_cmp_gt_u32_e32 vcc_lo, 62, v1
	s_delay_alu instid0(VALU_DEP_2)
	v_lshlrev_b32_e32 v3, 2, v3
	v_cndmask_b32_e64 v5, 0, 2, vcc_lo
	v_cmp_lt_u32_e32 vcc_lo, v6, v4
	v_add_nc_u32_e32 v6, 2, v1
	ds_bpermute_b32 v3, v3, v2
	v_add_lshl_u32 v5, v5, v1, 2
	s_wait_dscnt 0x0
	v_add_f32_e32 v3, v2, v3
	s_delay_alu instid0(VALU_DEP_1)
	v_cndmask_b32_e32 v2, v2, v3, vcc_lo
	v_cmp_gt_u32_e32 vcc_lo, 60, v1
	ds_bpermute_b32 v3, v5, v2
	v_cndmask_b32_e64 v5, 0, 4, vcc_lo
	v_cmp_lt_u32_e32 vcc_lo, v6, v4
	v_add_nc_u32_e32 v6, 4, v1
	s_delay_alu instid0(VALU_DEP_3) | instskip(SKIP_2) | instid1(VALU_DEP_1)
	v_add_lshl_u32 v5, v5, v1, 2
	s_wait_dscnt 0x0
	v_add_f32_e32 v3, v2, v3
	v_cndmask_b32_e32 v2, v2, v3, vcc_lo
	v_cmp_gt_u32_e32 vcc_lo, 56, v1
	ds_bpermute_b32 v3, v5, v2
	v_cndmask_b32_e64 v5, 0, 8, vcc_lo
	v_cmp_lt_u32_e32 vcc_lo, v6, v4
	v_add_nc_u32_e32 v6, 8, v1
	s_delay_alu instid0(VALU_DEP_3) | instskip(SKIP_2) | instid1(VALU_DEP_1)
	v_add_lshl_u32 v5, v5, v1, 2
	s_wait_dscnt 0x0
	v_add_f32_e32 v3, v2, v3
	v_cndmask_b32_e32 v2, v2, v3, vcc_lo
	v_cmp_gt_u32_e32 vcc_lo, 48, v1
	ds_bpermute_b32 v3, v5, v2
	v_cndmask_b32_e64 v5, 0, 16, vcc_lo
	v_cmp_lt_u32_e32 vcc_lo, v6, v4
	s_delay_alu instid0(VALU_DEP_2) | instskip(SKIP_2) | instid1(VALU_DEP_1)
	v_add_lshl_u32 v5, v5, v1, 2
	s_wait_dscnt 0x0
	v_add_f32_e32 v3, v2, v3
	v_cndmask_b32_e32 v3, v2, v3, vcc_lo
	ds_bpermute_b32 v2, v5, v3
	v_add_nc_u32_e32 v5, 16, v1
	s_delay_alu instid0(VALU_DEP_1) | instskip(SKIP_2) | instid1(VALU_DEP_1)
	v_cmp_lt_u32_e32 vcc_lo, v5, v4
	s_wait_dscnt 0x0
	v_dual_add_f32 v6, v3, v2 :: v_dual_lshlrev_b32 v2, 2, v1
	v_dual_cndmask_b32 v3, v3, v6, vcc_lo :: v_dual_bitop2_b32 v6, 32, v1 bitop3:0x54
	ds_bpermute_b32 v5, v2, v3 offset:128
	v_cmp_lt_u32_e32 vcc_lo, v6, v4
	s_wait_dscnt 0x0
	v_add_f32_e32 v5, v3, v5
	s_delay_alu instid0(VALU_DEP_1)
	v_cndmask_b32_e32 v3, v3, v5, vcc_lo
	v_cmpx_eq_u32_e32 0, v1
; %bb.7:
	v_lshrrev_b32_e32 v4, 4, v0
	s_delay_alu instid0(VALU_DEP_1)
	v_and_b32_e32 v4, 60, v4
	ds_store_b32 v4, v3
; %bb.8:
	s_or_b32 exec_lo, exec_lo, s3
	s_delay_alu instid0(SALU_CYCLE_1)
	s_mov_b32 s6, exec_lo
	s_wait_storecnt_dscnt 0x0
	s_barrier_signal -1
	s_barrier_wait -1
	v_cmpx_gt_u32_e32 16, v0
	s_cbranch_execz .LBB9_10
; %bb.9:
	ds_load_b32 v3, v2
	v_dual_add_nc_u32 v6, 63, v10 :: v_dual_bitop2_b32 v4, 15, v1 bitop3:0x40
	v_or_b32_e32 v2, 32, v2
	s_delay_alu instid0(VALU_DEP_2) | instskip(NEXT) | instid1(VALU_DEP_3)
	v_cmp_ne_u32_e32 vcc_lo, 15, v4
	v_dual_lshrrev_b32 v6, 6, v6 :: v_dual_add_nc_u32 v9, 2, v4
	v_cmp_gt_u32_e64 s3, 12, v4
	v_add_co_ci_u32_e64 v5, null, 0, v1, vcc_lo
	v_cmp_gt_u32_e32 vcc_lo, 14, v4
	s_delay_alu instid0(VALU_DEP_2)
	v_lshlrev_b32_e32 v5, 2, v5
	v_cndmask_b32_e64 v7, 0, 2, vcc_lo
	s_wait_dscnt 0x0
	ds_bpermute_b32 v5, v5, v3
	v_add_nc_u32_e32 v8, 1, v4
	v_add_lshl_u32 v7, v7, v1, 2
	s_wait_dscnt 0x0
	v_add_f32_e32 v5, v3, v5
	s_delay_alu instid0(VALU_DEP_3) | instskip(SKIP_2) | instid1(VALU_DEP_4)
	v_cmp_lt_u32_e32 vcc_lo, v8, v6
	v_cndmask_b32_e64 v8, 0, 4, s3
	v_cmp_lt_u32_e64 s3, v9, v6
	v_cndmask_b32_e32 v5, v3, v5, vcc_lo
	s_delay_alu instid0(VALU_DEP_3) | instskip(SKIP_3) | instid1(VALU_DEP_1)
	v_add_lshl_u32 v1, v8, v1, 2
	ds_bpermute_b32 v7, v7, v5
	s_wait_dscnt 0x0
	v_add_f32_e32 v7, v5, v7
	v_dual_cndmask_b32 v5, v5, v7, s3 :: v_dual_add_nc_u32 v7, 4, v4
	ds_bpermute_b32 v1, v1, v5
	v_cmp_lt_u32_e64 s3, v7, v6
	s_wait_dscnt 0x0
	v_add_f32_e32 v1, v5, v1
	s_delay_alu instid0(VALU_DEP_1) | instskip(SKIP_3) | instid1(VALU_DEP_1)
	v_cndmask_b32_e64 v1, v5, v1, s3
	ds_bpermute_b32 v2, v2, v1
	s_wait_dscnt 0x0
	v_dual_add_nc_u32 v4, 8, v4 :: v_dual_add_f32 v2, v1, v2
	v_cmp_lt_u32_e64 s3, v4, v6
	s_delay_alu instid0(VALU_DEP_1) | instskip(NEXT) | instid1(VALU_DEP_1)
	v_cndmask_b32_e64 v1, v1, v2, s3
	v_cndmask_b32_e32 v3, v3, v1, vcc_lo
.LBB9_10:
	s_or_b32 exec_lo, exec_lo, s6
	s_delay_alu instid0(SALU_CYCLE_1)
	s_mov_b32 s3, exec_lo
	v_cmpx_eq_u32_e32 0, v0
	s_cbranch_execz .LBB9_12
; %bb.11:
	s_cvt_f32_i32 s6, s15
	s_wait_xcnt 0x0
	s_load_b32 s0, s[0:1], 0x30
	s_delay_alu instid0(SALU_CYCLE_1) | instskip(SKIP_1) | instid1(VALU_DEP_2)
	v_div_scale_f32 v1, null, s6, s6, v3
	v_div_scale_f32 v5, vcc_lo, v3, s6, v3
	v_rcp_f32_e32 v2, v1
	v_nop
	s_delay_alu instid0(TRANS32_DEP_1) | instskip(NEXT) | instid1(VALU_DEP_1)
	v_fma_f32 v4, -v1, v2, 1.0
	v_fmac_f32_e32 v2, v4, v2
	s_delay_alu instid0(VALU_DEP_1) | instskip(NEXT) | instid1(VALU_DEP_1)
	v_mul_f32_e32 v4, v5, v2
	v_fma_f32 v6, -v1, v4, v5
	s_delay_alu instid0(VALU_DEP_1) | instskip(NEXT) | instid1(VALU_DEP_1)
	v_fmac_f32_e32 v4, v6, v2
	v_fma_f32 v1, -v1, v4, v5
	s_delay_alu instid0(VALU_DEP_1) | instskip(NEXT) | instid1(VALU_DEP_1)
	v_div_fmas_f32 v1, v1, v2, v4
	v_div_fixup_f32 v1, v1, s6, v3
	s_wait_kmcnt 0x0
	s_delay_alu instid0(VALU_DEP_1) | instskip(NEXT) | instid1(VALU_DEP_1)
	v_add_f32_e32 v1, s0, v1
	v_mul_f32_e32 v2, 0x4b800000, v1
	v_cmp_gt_f32_e32 vcc_lo, 0x800000, v1
	s_delay_alu instid0(VALU_DEP_2) | instskip(NEXT) | instid1(VALU_DEP_1)
	v_cndmask_b32_e32 v1, v1, v2, vcc_lo
	v_rsq_f32_e32 v1, v1
	v_nop
	s_delay_alu instid0(TRANS32_DEP_1) | instskip(NEXT) | instid1(VALU_DEP_1)
	v_mul_f32_e32 v2, 0x45800000, v1
	v_dual_cndmask_b32 v1, v1, v2 :: v_dual_mov_b32 v2, 0
	ds_store_b32 v2, v1 offset:64
.LBB9_12:
	s_or_b32 exec_lo, exec_lo, s3
	s_wait_dscnt 0x0
	s_barrier_signal -1
	s_barrier_wait -1
	s_wait_xcnt 0x0
	s_and_saveexec_b32 s0, s2
	s_cbranch_execz .LBB9_111
; %bb.13:
	s_wait_kmcnt 0x0
	s_load_b32 s0, s[12:13], 0x0
	v_add_lshl_u32 v16, v0, s14, 3
	s_mov_b32 s2, 0
	s_mov_b32 s3, 0x43600000
	v_dual_mov_b32 v13, 0 :: v_dual_lshlrev_b32 v12, 4, v0
	ds_load_b32 v14, v13 offset:64
	v_mov_b32_e32 v11, v13
	s_delay_alu instid0(VALU_DEP_1) | instskip(SKIP_4) | instid1(VALU_DEP_2)
	v_lshlrev_b64_e32 v[18:19], 4, v[10:11]
	v_lshlrev_b32_e32 v11, 3, v10
	s_wait_kmcnt 0x0
	v_div_scale_f32 v1, null, s0, s0, 1.0
	v_div_scale_f32 v5, vcc_lo, 1.0, s0, 1.0
	v_rcp_f32_e32 v4, v1
	v_nop
	v_xor_b32_e32 v1, 0x80000000, v1
	s_wait_dscnt 0x0
	v_mov_b32_e32 v15, v14
	s_delay_alu instid0(TRANS32_DEP_1) | instid1(VALU_DEP_2)
	v_fma_f32 v2, v1, v4, 1.0
	s_delay_alu instid0(VALU_DEP_1) | instskip(NEXT) | instid1(VALU_DEP_1)
	v_fmac_f32_e32 v4, v2, v4
	v_mul_f32_e32 v6, v5, v4
	s_delay_alu instid0(VALU_DEP_1) | instskip(NEXT) | instid1(VALU_DEP_1)
	v_fma_f32 v2, v1, v6, v5
	v_fmac_f32_e32 v6, v2, v4
	v_add_nc_u64_e32 v[2:3], s[4:5], v[12:13]
	s_delay_alu instid0(VALU_DEP_2) | instskip(NEXT) | instid1(VALU_DEP_2)
	v_fmac_f32_e32 v5, v1, v6
	v_add_nc_u64_e32 v[20:21], 8, v[2:3]
	s_delay_alu instid0(VALU_DEP_2) | instskip(NEXT) | instid1(VALU_DEP_1)
	v_div_fmas_f32 v1, v5, v4, v6
	v_div_fixup_f32 v1, v1, s0, 1.0
	s_branch .LBB9_16
.LBB9_14:                               ;   in Loop: Header=BB9_16 Depth=1
	s_or_b32 exec_lo, exec_lo, s0
.LBB9_15:                               ;   in Loop: Header=BB9_16 Depth=1
	s_delay_alu instid0(SALU_CYCLE_1)
	s_or_b32 exec_lo, exec_lo, s4
	v_add_nc_u32_e32 v0, v0, v10
	v_add_nc_u64_e32 v[20:21], v[20:21], v[18:19]
	v_add_nc_u32_e32 v16, v16, v11
	global_store_b8 v[2:3], v6, off offset:7
	v_cmp_le_i32_e32 vcc_lo, s7, v0
	s_or_b32 s2, vcc_lo, s2
	s_wait_xcnt 0x0
	s_and_not1_b32 exec_lo, exec_lo, s2
	s_cbranch_execz .LBB9_111
.LBB9_16:                               ; =>This Inner Loop Header: Depth=1
	v_add_nc_u32_e32 v12, s14, v0
	s_mov_b32 s4, exec_lo
	global_load_b128 v[2:5], v12, s[8:9] scale_offset
	global_load_b128 v[6:9], v[20:21], off offset:-8
	s_wait_loadcnt 0x1
	s_wait_xcnt 0x1
	v_lshrrev_b32_e32 v12, 16, v2
	v_cvt_f32_f16_e32 v22, v2
	s_delay_alu instid0(VALU_DEP_2) | instskip(NEXT) | instid1(VALU_DEP_1)
	v_cvt_f32_f16_e32 v23, v12
	v_pk_mul_f32 v[22:23], v[14:15], v[22:23]
	s_delay_alu instid0(VALU_DEP_1) | instskip(SKIP_2) | instid1(VALU_DEP_2)
	v_cvt_pk_f16_f32 v2, v22, v23
	v_mov_b32_e32 v22, 0x80
	s_wait_loadcnt 0x0
	v_pk_mul_f16 v2, v6, v2
	s_delay_alu instid0(VALU_DEP_1) | instskip(NEXT) | instid1(VALU_DEP_1)
	v_cvt_f32_f16_e32 v6, v2
	v_mul_f32_e32 v6, v1, v6
	s_delay_alu instid0(VALU_DEP_1) | instskip(SKIP_1) | instid1(VALU_DEP_2)
	v_minmax_num_f32 v17, v6, s3, 0xc3600000
	v_mov_b32_e32 v6, 0x80
	v_and_b32_e32 v12, 0x7f800000, v17
	s_wait_xcnt 0x0
	s_delay_alu instid0(VALU_DEP_1)
	v_cmpx_ne_u64_e32 0x7f800000, v[12:13]
	s_cbranch_execz .LBB9_28
; %bb.17:                               ;   in Loop: Header=BB9_16 Depth=1
	v_and_b32_e32 v12, 0x7fffffff, v17
                                        ; implicit-def: $vgpr22
	s_mov_b32 s0, exec_lo
	s_delay_alu instid0(VALU_DEP_1)
	v_cmpx_gt_u64_e32 0x43700001, v[12:13]
	s_xor_b32 s5, exec_lo, s0
	s_cbranch_execz .LBB9_25
; %bb.18:                               ;   in Loop: Header=BB9_16 Depth=1
	v_mov_b32_e32 v22, 0
	s_mov_b32 s6, exec_lo
	v_cmpx_ne_u32_e32 0, v17
	s_cbranch_execz .LBB9_24
; %bb.19:                               ;   in Loop: Header=BB9_16 Depth=1
	v_bfe_u32 v28, v17, 23, 8
	v_and_b32_e32 v22, 0x7fffff, v17
	s_delay_alu instid0(VALU_DEP_2) | instskip(SKIP_1) | instid1(VALU_DEP_2)
	v_sub_nc_u32_e64 v12, 0x78, v28 clamp
	v_cmp_eq_u32_e32 vcc_lo, 0, v28
	v_cndmask_b32_e64 v29, v12, 0x77, vcc_lo
	s_delay_alu instid0(VALU_DEP_4) | instskip(NEXT) | instid1(VALU_DEP_1)
	v_or_b32_e32 v12, 0x800000, v22
	v_dual_cndmask_b32 v12, v12, v22 :: v_dual_add_nc_u32 v23, 20, v29
	s_delay_alu instid0(VALU_DEP_1) | instskip(NEXT) | instid1(VALU_DEP_2)
	v_lshlrev_b64_e64 v[22:23], v23, -1
	v_lshrrev_b64 v[24:25], v29, v[12:13]
	v_add_nc_u32_e32 v26, 19, v29
	v_add_nc_u32_e32 v25, 0xffffff89, v28
	s_delay_alu instid0(VALU_DEP_2) | instskip(SKIP_3) | instid1(VALU_DEP_2)
	v_lshlrev_b64_e64 v[26:27], v26, 1
	v_bfi_b32 v23, v23, 0, 0
	v_bfi_b32 v22, v22, 0, v12
	v_and_b32_e32 v12, 0x100000, v24
	v_cmp_eq_u64_e64 s0, v[22:23], v[26:27]
	s_delay_alu instid0(VALU_DEP_2) | instskip(SKIP_3) | instid1(VALU_DEP_1)
	v_cmp_eq_u64_e64 s1, 0, v[12:13]
	v_cndmask_b32_e64 v12, v25, 0xffffff8a, vcc_lo
	v_lshrrev_b32_e32 v22, 23, v24
	s_and_b32 vcc_lo, s1, s0
	v_add3_u32 v25, v12, v29, v22
	v_subrev_co_ci_u32_e64 v23, null, 0, v24, vcc_lo
	s_mov_b32 s0, exec_lo
	v_and_b32_e32 v12, 0xfffff, v23
	v_add_nc_u32_e32 v26, -1, v25
                                        ; implicit-def: $vgpr22_vgpr23
	s_delay_alu instid0(VALU_DEP_2) | instskip(NEXT) | instid1(VALU_DEP_2)
	v_add_nc_u32_e32 v12, v12, v24
                                        ; implicit-def: $vgpr24
	v_cmpx_ne_u32_e32 0, v26
	s_xor_b32 s0, exec_lo, s0
	s_cbranch_execz .LBB9_21
; %bb.20:                               ;   in Loop: Header=BB9_16 Depth=1
	s_delay_alu instid0(VALU_DEP_2) | instskip(SKIP_2) | instid1(VALU_DEP_2)
	v_and_b32_e32 v28, 0x1000000, v12
	v_mov_b32_e32 v29, v13
	v_bfe_u32 v22, v12, 24, 1
	v_cmp_eq_u64_e32 vcc_lo, 0, v[28:29]
	s_delay_alu instid0(VALU_DEP_2)
	v_lshrrev_b64 v[22:23], v22, v[12:13]
	v_cndmask_b32_e32 v24, v25, v26, vcc_lo
.LBB9_21:                               ;   in Loop: Header=BB9_16 Depth=1
	s_and_not1_saveexec_b32 s0, s0
; %bb.22:                               ;   in Loop: Header=BB9_16 Depth=1
	v_mov_b64_e32 v[22:23], v[12:13]
	v_bfe_u32 v24, v12, 23, 1
; %bb.23:                               ;   in Loop: Header=BB9_16 Depth=1
	s_or_b32 exec_lo, exec_lo, s0
	s_delay_alu instid0(VALU_DEP_2) | instskip(NEXT) | instid1(VALU_DEP_2)
	v_lshrrev_b64 v[22:23], 20, v[22:23]
	v_dual_lshrrev_b32 v12, 24, v17 :: v_dual_min_i32 v17, 15, v24
	v_cmp_gt_i32_e32 vcc_lo, 16, v24
	v_cmp_eq_u32_e64 s0, 0, v24
	s_delay_alu instid0(VALU_DEP_3) | instskip(SKIP_1) | instid1(VALU_DEP_2)
	v_and_b32_e32 v12, 0x80, v12
	v_dual_cndmask_b32 v23, 0, v23 :: v_dual_cndmask_b32 v22, 7, v22
	v_lshl_or_b32 v12, v17, 3, v12
	s_delay_alu instid0(VALU_DEP_2) | instskip(NEXT) | instid1(VALU_DEP_2)
	v_cmp_eq_u64_e32 vcc_lo, 0, v[22:23]
	v_and_or_b32 v12, v22, 7, v12
	s_and_b32 s0, s0, vcc_lo
	s_delay_alu instid0(VALU_DEP_1) | instid1(SALU_CYCLE_1)
	v_cndmask_b32_e64 v22, v12, 0, s0
.LBB9_24:                               ;   in Loop: Header=BB9_16 Depth=1
	s_or_b32 exec_lo, exec_lo, s6
                                        ; implicit-def: $vgpr17
.LBB9_25:                               ;   in Loop: Header=BB9_16 Depth=1
	s_and_not1_saveexec_b32 s0, s5
; %bb.26:                               ;   in Loop: Header=BB9_16 Depth=1
	v_lshrrev_b32_e32 v12, 24, v17
	s_delay_alu instid0(VALU_DEP_1)
	v_or_b32_e32 v22, 0x7f, v12
; %bb.27:                               ;   in Loop: Header=BB9_16 Depth=1
	s_or_b32 exec_lo, exec_lo, s0
.LBB9_28:                               ;   in Loop: Header=BB9_16 Depth=1
	s_delay_alu instid0(SALU_CYCLE_1) | instskip(SKIP_4) | instid1(VALU_DEP_1)
	s_or_b32 exec_lo, exec_lo, s4
	v_lshrrev_b32_e32 v2, 16, v2
	s_mov_b32 s4, exec_lo
	global_store_b8 v16, v22, s[10:11]
	v_cvt_f32_f16_e32 v2, v2
	v_mul_f32_e32 v2, v1, v2
	s_delay_alu instid0(VALU_DEP_1) | instskip(NEXT) | instid1(VALU_DEP_1)
	v_minmax_num_f32 v2, v2, s3, 0xc3600000
	v_and_b32_e32 v12, 0x7f800000, v2
	s_wait_xcnt 0x0
	s_delay_alu instid0(VALU_DEP_1)
	v_cmpx_ne_u64_e32 0x7f800000, v[12:13]
	s_cbranch_execz .LBB9_40
; %bb.29:                               ;   in Loop: Header=BB9_16 Depth=1
	v_and_b32_e32 v12, 0x7fffffff, v2
                                        ; implicit-def: $vgpr6
	s_mov_b32 s0, exec_lo
	s_delay_alu instid0(VALU_DEP_1)
	v_cmpx_gt_u64_e32 0x43700001, v[12:13]
	s_xor_b32 s5, exec_lo, s0
	s_cbranch_execz .LBB9_37
; %bb.30:                               ;   in Loop: Header=BB9_16 Depth=1
	v_mov_b32_e32 v6, 0
	s_mov_b32 s6, exec_lo
	v_cmpx_ne_u32_e32 0, v2
	s_cbranch_execz .LBB9_36
; %bb.31:                               ;   in Loop: Header=BB9_16 Depth=1
	v_bfe_u32 v6, v2, 23, 8
	v_and_b32_e32 v17, 0x7fffff, v2
	s_delay_alu instid0(VALU_DEP_2) | instskip(SKIP_2) | instid1(VALU_DEP_3)
	v_sub_nc_u32_e64 v12, 0x78, v6 clamp
	v_cmp_eq_u32_e32 vcc_lo, 0, v6
	v_add_nc_u32_e32 v6, 0xffffff89, v6
	v_cndmask_b32_e64 v28, v12, 0x77, vcc_lo
	v_or_b32_e32 v12, 0x800000, v17
	s_delay_alu instid0(VALU_DEP_3) | instskip(NEXT) | instid1(VALU_DEP_2)
	v_cndmask_b32_e64 v6, v6, 0xffffff8a, vcc_lo
	v_dual_add_nc_u32 v22, 20, v28 :: v_dual_cndmask_b32 v12, v12, v17, vcc_lo
	s_delay_alu instid0(VALU_DEP_1) | instskip(NEXT) | instid1(VALU_DEP_2)
	v_lshlrev_b64_e64 v[22:23], v22, -1
	v_lshrrev_b64 v[26:27], v28, v[12:13]
	v_add_nc_u32_e32 v17, 19, v28
	s_delay_alu instid0(VALU_DEP_3) | instskip(NEXT) | instid1(VALU_DEP_3)
	v_bfi_b32 v22, v22, 0, v12
	v_and_b32_e32 v12, 0x100000, v26
	v_bfi_b32 v23, v23, 0, 0
	s_delay_alu instid0(VALU_DEP_2) | instskip(SKIP_2) | instid1(VALU_DEP_2)
	v_cmp_eq_u64_e64 s1, 0, v[12:13]
	v_lshrrev_b32_e32 v12, 23, v26
	v_lshlrev_b64_e64 v[24:25], v17, 1
	v_add3_u32 v17, v6, v28, v12
	s_delay_alu instid0(VALU_DEP_2) | instskip(SKIP_3) | instid1(VALU_DEP_1)
	v_cmp_eq_u64_e64 s0, v[22:23], v[24:25]
	s_and_b32 vcc_lo, s1, s0
	s_mov_b32 s0, exec_lo
	v_subrev_co_ci_u32_e64 v22, null, 0, v26, vcc_lo
	v_and_b32_e32 v6, 0xfffff, v22
	v_add_nc_u32_e32 v24, -1, v17
                                        ; implicit-def: $vgpr22_vgpr23
	s_delay_alu instid0(VALU_DEP_2) | instskip(NEXT) | instid1(VALU_DEP_2)
	v_add_nc_u32_e32 v12, v6, v26
                                        ; implicit-def: $vgpr6
	v_cmpx_ne_u32_e32 0, v24
	s_xor_b32 s0, exec_lo, s0
	s_cbranch_execz .LBB9_33
; %bb.32:                               ;   in Loop: Header=BB9_16 Depth=1
	s_delay_alu instid0(VALU_DEP_2) | instskip(SKIP_2) | instid1(VALU_DEP_2)
	v_and_b32_e32 v26, 0x1000000, v12
	v_mov_b32_e32 v27, v13
	v_bfe_u32 v6, v12, 24, 1
	v_cmp_eq_u64_e32 vcc_lo, 0, v[26:27]
	s_delay_alu instid0(VALU_DEP_2)
	v_lshrrev_b64 v[22:23], v6, v[12:13]
	v_cndmask_b32_e32 v6, v17, v24, vcc_lo
.LBB9_33:                               ;   in Loop: Header=BB9_16 Depth=1
	s_and_not1_saveexec_b32 s0, s0
; %bb.34:                               ;   in Loop: Header=BB9_16 Depth=1
	v_mov_b64_e32 v[22:23], v[12:13]
	v_bfe_u32 v6, v12, 23, 1
; %bb.35:                               ;   in Loop: Header=BB9_16 Depth=1
	s_or_b32 exec_lo, exec_lo, s0
	s_delay_alu instid0(VALU_DEP_2) | instskip(NEXT) | instid1(VALU_DEP_2)
	v_lshrrev_b64 v[22:23], 20, v[22:23]
	v_cmp_gt_i32_e32 vcc_lo, 16, v6
	v_lshrrev_b32_e32 v2, 24, v2
	v_min_i32_e32 v12, 15, v6
	v_cmp_eq_u32_e64 s0, 0, v6
	v_cndmask_b32_e32 v23, 0, v23, vcc_lo
	s_delay_alu instid0(VALU_DEP_4) | instskip(SKIP_1) | instid1(VALU_DEP_2)
	v_and_b32_e32 v2, 0x80, v2
	v_cndmask_b32_e32 v22, 7, v22, vcc_lo
	v_lshl_or_b32 v2, v12, 3, v2
	s_delay_alu instid0(VALU_DEP_2) | instskip(NEXT) | instid1(VALU_DEP_2)
	v_cmp_eq_u64_e32 vcc_lo, 0, v[22:23]
	v_and_or_b32 v2, v22, 7, v2
	s_and_b32 s0, s0, vcc_lo
	s_delay_alu instid0(VALU_DEP_1) | instid1(SALU_CYCLE_1)
	v_cndmask_b32_e64 v6, v2, 0, s0
.LBB9_36:                               ;   in Loop: Header=BB9_16 Depth=1
	s_or_b32 exec_lo, exec_lo, s6
                                        ; implicit-def: $vgpr2
.LBB9_37:                               ;   in Loop: Header=BB9_16 Depth=1
	s_and_not1_saveexec_b32 s0, s5
; %bb.38:                               ;   in Loop: Header=BB9_16 Depth=1
	v_lshrrev_b32_e32 v2, 24, v2
	s_delay_alu instid0(VALU_DEP_1)
	v_or_b32_e32 v6, 0x7f, v2
; %bb.39:                               ;   in Loop: Header=BB9_16 Depth=1
	s_or_b32 exec_lo, exec_lo, s0
.LBB9_40:                               ;   in Loop: Header=BB9_16 Depth=1
	s_delay_alu instid0(SALU_CYCLE_1) | instskip(SKIP_3) | instid1(VALU_DEP_2)
	s_or_b32 exec_lo, exec_lo, s4
	v_dual_lshrrev_b32 v2, 16, v3 :: v_dual_ashrrev_i32 v17, 31, v16
	v_cvt_f32_f16_e32 v22, v3
	s_mov_b32 s4, exec_lo
	v_cvt_f32_f16_e32 v23, v2
	s_delay_alu instid0(VALU_DEP_1) | instskip(NEXT) | instid1(VALU_DEP_1)
	v_pk_mul_f32 v[2:3], v[14:15], v[22:23]
	v_cvt_pk_f16_f32 v2, v2, v3
	s_delay_alu instid0(VALU_DEP_1) | instskip(SKIP_1) | instid1(VALU_DEP_2)
	v_pk_mul_f16 v22, v7, v2
	v_mov_b32_e32 v7, 0x80
	v_cvt_f32_f16_e32 v2, v22
	s_delay_alu instid0(VALU_DEP_1) | instskip(NEXT) | instid1(VALU_DEP_1)
	v_mul_f32_e32 v2, v1, v2
	v_minmax_num_f32 v23, v2, s3, 0xc3600000
	v_add_nc_u64_e32 v[2:3], s[10:11], v[16:17]
	v_mov_b32_e32 v17, 0x80
	s_delay_alu instid0(VALU_DEP_3)
	v_and_b32_e32 v12, 0x7f800000, v23
	global_store_b8 v[2:3], v6, off offset:1
	s_wait_xcnt 0x0
	v_cmpx_ne_u64_e32 0x7f800000, v[12:13]
	s_cbranch_execz .LBB9_52
; %bb.41:                               ;   in Loop: Header=BB9_16 Depth=1
	v_and_b32_e32 v12, 0x7fffffff, v23
                                        ; implicit-def: $vgpr7
	s_mov_b32 s0, exec_lo
	s_delay_alu instid0(VALU_DEP_1)
	v_cmpx_gt_u64_e32 0x43700001, v[12:13]
	s_xor_b32 s5, exec_lo, s0
	s_cbranch_execz .LBB9_49
; %bb.42:                               ;   in Loop: Header=BB9_16 Depth=1
	v_mov_b32_e32 v7, 0
	s_mov_b32 s6, exec_lo
	v_cmpx_ne_u32_e32 0, v23
	s_cbranch_execz .LBB9_48
; %bb.43:                               ;   in Loop: Header=BB9_16 Depth=1
	v_bfe_u32 v28, v23, 23, 8
	v_and_b32_e32 v7, 0x7fffff, v23
	s_delay_alu instid0(VALU_DEP_2) | instskip(SKIP_1) | instid1(VALU_DEP_2)
	v_sub_nc_u32_e64 v6, 0x78, v28 clamp
	v_cmp_eq_u32_e32 vcc_lo, 0, v28
	v_cndmask_b32_e64 v29, v6, 0x77, vcc_lo
	s_delay_alu instid0(VALU_DEP_4) | instskip(NEXT) | instid1(VALU_DEP_1)
	v_or_b32_e32 v6, 0x800000, v7
	v_dual_add_nc_u32 v24, 20, v29 :: v_dual_cndmask_b32 v12, v6, v7, vcc_lo
	s_delay_alu instid0(VALU_DEP_1) | instskip(NEXT) | instid1(VALU_DEP_2)
	v_lshlrev_b64_e64 v[6:7], v24, -1
	v_lshrrev_b64 v[24:25], v29, v[12:13]
	v_add_nc_u32_e32 v26, 19, v29
	v_add_nc_u32_e32 v25, 0xffffff89, v28
	s_delay_alu instid0(VALU_DEP_2) | instskip(SKIP_3) | instid1(VALU_DEP_2)
	v_lshlrev_b64_e64 v[26:27], v26, 1
	v_bfi_b32 v7, v7, 0, 0
	v_bfi_b32 v6, v6, 0, v12
	v_and_b32_e32 v12, 0x100000, v24
	v_cmp_eq_u64_e64 s0, v[6:7], v[26:27]
	s_delay_alu instid0(VALU_DEP_2) | instskip(SKIP_3) | instid1(VALU_DEP_1)
	v_cmp_eq_u64_e64 s1, 0, v[12:13]
	v_cndmask_b32_e64 v6, v25, 0xffffff8a, vcc_lo
	v_lshrrev_b32_e32 v7, 23, v24
	s_and_b32 vcc_lo, s1, s0
	v_add3_u32 v25, v6, v29, v7
	v_subrev_co_ci_u32_e64 v12, null, 0, v24, vcc_lo
	s_mov_b32 s0, exec_lo
	v_and_b32_e32 v6, 0xfffff, v12
	s_delay_alu instid0(VALU_DEP_1) | instskip(NEXT) | instid1(VALU_DEP_1)
	v_dual_add_nc_u32 v26, -1, v25 :: v_dual_add_nc_u32 v12, v6, v24
                                        ; implicit-def: $vgpr6_vgpr7
                                        ; implicit-def: $vgpr24
	v_cmpx_ne_u32_e32 0, v26
	s_xor_b32 s0, exec_lo, s0
	s_cbranch_execz .LBB9_45
; %bb.44:                               ;   in Loop: Header=BB9_16 Depth=1
	s_delay_alu instid0(VALU_DEP_2) | instskip(SKIP_2) | instid1(VALU_DEP_2)
	v_and_b32_e32 v28, 0x1000000, v12
	v_mov_b32_e32 v29, v13
	v_bfe_u32 v6, v12, 24, 1
	v_cmp_eq_u64_e32 vcc_lo, 0, v[28:29]
	s_delay_alu instid0(VALU_DEP_2)
	v_lshrrev_b64 v[6:7], v6, v[12:13]
	v_cndmask_b32_e32 v24, v25, v26, vcc_lo
.LBB9_45:                               ;   in Loop: Header=BB9_16 Depth=1
	s_and_not1_saveexec_b32 s0, s0
; %bb.46:                               ;   in Loop: Header=BB9_16 Depth=1
	v_mov_b64_e32 v[6:7], v[12:13]
	v_bfe_u32 v24, v12, 23, 1
; %bb.47:                               ;   in Loop: Header=BB9_16 Depth=1
	s_or_b32 exec_lo, exec_lo, s0
	s_delay_alu instid0(VALU_DEP_2) | instskip(NEXT) | instid1(VALU_DEP_2)
	v_lshrrev_b64 v[6:7], 20, v[6:7]
	v_dual_lshrrev_b32 v12, 24, v23 :: v_dual_min_i32 v23, 15, v24
	v_cmp_gt_i32_e32 vcc_lo, 16, v24
	v_cmp_eq_u32_e64 s0, 0, v24
	s_delay_alu instid0(VALU_DEP_3) | instskip(SKIP_1) | instid1(VALU_DEP_2)
	v_and_b32_e32 v12, 0x80, v12
	v_dual_cndmask_b32 v7, 0, v7 :: v_dual_cndmask_b32 v6, 7, v6
	v_lshl_or_b32 v12, v23, 3, v12
	s_delay_alu instid0(VALU_DEP_2) | instskip(NEXT) | instid1(VALU_DEP_2)
	v_cmp_eq_u64_e32 vcc_lo, 0, v[6:7]
	v_and_or_b32 v6, v6, 7, v12
	s_and_b32 s0, s0, vcc_lo
	s_delay_alu instid0(VALU_DEP_1) | instid1(SALU_CYCLE_1)
	v_cndmask_b32_e64 v7, v6, 0, s0
.LBB9_48:                               ;   in Loop: Header=BB9_16 Depth=1
	s_or_b32 exec_lo, exec_lo, s6
                                        ; implicit-def: $vgpr23
.LBB9_49:                               ;   in Loop: Header=BB9_16 Depth=1
	s_and_not1_saveexec_b32 s0, s5
; %bb.50:                               ;   in Loop: Header=BB9_16 Depth=1
	v_lshrrev_b32_e32 v6, 24, v23
	s_delay_alu instid0(VALU_DEP_1)
	v_or_b32_e32 v7, 0x7f, v6
; %bb.51:                               ;   in Loop: Header=BB9_16 Depth=1
	s_or_b32 exec_lo, exec_lo, s0
.LBB9_52:                               ;   in Loop: Header=BB9_16 Depth=1
	s_delay_alu instid0(SALU_CYCLE_1) | instskip(SKIP_4) | instid1(VALU_DEP_1)
	s_or_b32 exec_lo, exec_lo, s4
	v_lshrrev_b32_e32 v6, 16, v22
	s_mov_b32 s4, exec_lo
	global_store_b8 v[2:3], v7, off offset:2
	v_cvt_f32_f16_e32 v6, v6
	v_mul_f32_e32 v6, v1, v6
	s_delay_alu instid0(VALU_DEP_1) | instskip(NEXT) | instid1(VALU_DEP_1)
	v_minmax_num_f32 v22, v6, s3, 0xc3600000
	v_and_b32_e32 v12, 0x7f800000, v22
	s_wait_xcnt 0x0
	s_delay_alu instid0(VALU_DEP_1)
	v_cmpx_ne_u64_e32 0x7f800000, v[12:13]
	s_cbranch_execz .LBB9_64
; %bb.53:                               ;   in Loop: Header=BB9_16 Depth=1
	v_and_b32_e32 v12, 0x7fffffff, v22
                                        ; implicit-def: $vgpr17
	s_mov_b32 s0, exec_lo
	s_delay_alu instid0(VALU_DEP_1)
	v_cmpx_gt_u64_e32 0x43700001, v[12:13]
	s_xor_b32 s5, exec_lo, s0
	s_cbranch_execz .LBB9_61
; %bb.54:                               ;   in Loop: Header=BB9_16 Depth=1
	v_mov_b32_e32 v17, 0
	s_mov_b32 s6, exec_lo
	v_cmpx_ne_u32_e32 0, v22
	s_cbranch_execz .LBB9_60
; %bb.55:                               ;   in Loop: Header=BB9_16 Depth=1
	v_bfe_u32 v17, v22, 23, 8
	v_and_b32_e32 v7, 0x7fffff, v22
	s_delay_alu instid0(VALU_DEP_2) | instskip(SKIP_2) | instid1(VALU_DEP_3)
	v_sub_nc_u32_e64 v6, 0x78, v17 clamp
	v_cmp_eq_u32_e32 vcc_lo, 0, v17
	v_add_nc_u32_e32 v17, 0xffffff89, v17
	v_cndmask_b32_e64 v23, v6, 0x77, vcc_lo
	v_or_b32_e32 v6, 0x800000, v7
	s_delay_alu instid0(VALU_DEP_1) | instskip(NEXT) | instid1(VALU_DEP_1)
	v_cndmask_b32_e32 v12, v6, v7, vcc_lo
	v_lshrrev_b64 v[26:27], v23, v[12:13]
	v_add_nc_u32_e32 v24, 20, v23
	s_delay_alu instid0(VALU_DEP_1) | instskip(SKIP_1) | instid1(VALU_DEP_1)
	v_lshlrev_b64_e64 v[6:7], v24, -1
	v_add_nc_u32_e32 v24, 19, v23
	v_lshlrev_b64_e64 v[24:25], v24, 1
	s_delay_alu instid0(VALU_DEP_3) | instskip(NEXT) | instid1(VALU_DEP_4)
	v_bfi_b32 v7, v7, 0, 0
	v_bfi_b32 v6, v6, 0, v12
	v_and_b32_e32 v12, 0x100000, v26
	s_delay_alu instid0(VALU_DEP_2) | instskip(NEXT) | instid1(VALU_DEP_2)
	v_cmp_eq_u64_e64 s0, v[6:7], v[24:25]
	v_cmp_eq_u64_e64 s1, 0, v[12:13]
	v_cndmask_b32_e64 v6, v17, 0xffffff8a, vcc_lo
	v_lshrrev_b32_e32 v7, 23, v26
                                        ; implicit-def: $vgpr17
	s_and_b32 vcc_lo, s1, s0
	s_delay_alu instid0(VALU_DEP_1) | instskip(SKIP_4) | instid1(VALU_DEP_1)
	v_add3_u32 v23, v6, v23, v7
	v_subrev_co_ci_u32_e64 v12, null, 0, v26, vcc_lo
	s_mov_b32 s0, exec_lo
	v_add_nc_u32_e32 v24, -1, v23
	v_and_b32_e32 v6, 0xfffff, v12
	v_add_nc_u32_e32 v12, v6, v26
                                        ; implicit-def: $vgpr6_vgpr7
	s_delay_alu instid0(VALU_DEP_3)
	v_cmpx_ne_u32_e32 0, v24
	s_xor_b32 s0, exec_lo, s0
	s_cbranch_execz .LBB9_57
; %bb.56:                               ;   in Loop: Header=BB9_16 Depth=1
	s_delay_alu instid0(VALU_DEP_2) | instskip(SKIP_2) | instid1(VALU_DEP_2)
	v_and_b32_e32 v26, 0x1000000, v12
	v_mov_b32_e32 v27, v13
	v_bfe_u32 v6, v12, 24, 1
	v_cmp_eq_u64_e32 vcc_lo, 0, v[26:27]
	s_delay_alu instid0(VALU_DEP_2)
	v_lshrrev_b64 v[6:7], v6, v[12:13]
	v_cndmask_b32_e32 v17, v23, v24, vcc_lo
.LBB9_57:                               ;   in Loop: Header=BB9_16 Depth=1
	s_and_not1_saveexec_b32 s0, s0
; %bb.58:                               ;   in Loop: Header=BB9_16 Depth=1
	v_mov_b64_e32 v[6:7], v[12:13]
	v_bfe_u32 v17, v12, 23, 1
; %bb.59:                               ;   in Loop: Header=BB9_16 Depth=1
	s_or_b32 exec_lo, exec_lo, s0
	s_delay_alu instid0(VALU_DEP_2) | instskip(NEXT) | instid1(VALU_DEP_2)
	v_lshrrev_b64 v[6:7], 20, v[6:7]
	v_dual_lshrrev_b32 v12, 24, v22 :: v_dual_min_i32 v22, 15, v17
	v_cmp_gt_i32_e32 vcc_lo, 16, v17
	v_cmp_eq_u32_e64 s0, 0, v17
	s_delay_alu instid0(VALU_DEP_3) | instskip(SKIP_1) | instid1(VALU_DEP_2)
	v_and_b32_e32 v12, 0x80, v12
	v_dual_cndmask_b32 v7, 0, v7 :: v_dual_cndmask_b32 v6, 7, v6
	v_lshl_or_b32 v12, v22, 3, v12
	s_delay_alu instid0(VALU_DEP_2) | instskip(NEXT) | instid1(VALU_DEP_2)
	v_cmp_eq_u64_e32 vcc_lo, 0, v[6:7]
	v_and_or_b32 v6, v6, 7, v12
	s_and_b32 s0, s0, vcc_lo
	s_delay_alu instid0(VALU_DEP_1) | instid1(SALU_CYCLE_1)
	v_cndmask_b32_e64 v17, v6, 0, s0
.LBB9_60:                               ;   in Loop: Header=BB9_16 Depth=1
	s_or_b32 exec_lo, exec_lo, s6
                                        ; implicit-def: $vgpr22
.LBB9_61:                               ;   in Loop: Header=BB9_16 Depth=1
	s_and_not1_saveexec_b32 s0, s5
; %bb.62:                               ;   in Loop: Header=BB9_16 Depth=1
	v_lshrrev_b32_e32 v6, 24, v22
	s_delay_alu instid0(VALU_DEP_1)
	v_or_b32_e32 v17, 0x7f, v6
; %bb.63:                               ;   in Loop: Header=BB9_16 Depth=1
	s_or_b32 exec_lo, exec_lo, s0
.LBB9_64:                               ;   in Loop: Header=BB9_16 Depth=1
	s_delay_alu instid0(SALU_CYCLE_1)
	s_or_b32 exec_lo, exec_lo, s4
	v_lshrrev_b32_e32 v6, 16, v4
	s_mov_b32 s4, exec_lo
	global_store_b8 v[2:3], v17, off offset:3
	v_cvt_f32_f16_e32 v7, v6
	v_cvt_f32_f16_e32 v6, v4
	s_delay_alu instid0(VALU_DEP_1) | instskip(NEXT) | instid1(VALU_DEP_1)
	v_pk_mul_f32 v[6:7], v[14:15], v[6:7]
	v_cvt_pk_f16_f32 v4, v6, v7
	v_mov_b32_e32 v6, 0x80
	s_delay_alu instid0(VALU_DEP_2) | instskip(NEXT) | instid1(VALU_DEP_1)
	v_pk_mul_f16 v8, v8, v4
	v_cvt_f32_f16_e32 v4, v8
	s_delay_alu instid0(VALU_DEP_1) | instskip(NEXT) | instid1(VALU_DEP_1)
	v_mul_f32_e32 v4, v1, v4
	v_minmax_num_f32 v22, v4, s3, 0xc3600000
	v_mov_b32_e32 v4, 0x80
	s_delay_alu instid0(VALU_DEP_2) | instskip(SKIP_1) | instid1(VALU_DEP_1)
	v_and_b32_e32 v12, 0x7f800000, v22
	s_wait_xcnt 0x0
	v_cmpx_ne_u64_e32 0x7f800000, v[12:13]
	s_cbranch_execz .LBB9_76
; %bb.65:                               ;   in Loop: Header=BB9_16 Depth=1
	v_and_b32_e32 v12, 0x7fffffff, v22
                                        ; implicit-def: $vgpr6
	s_mov_b32 s0, exec_lo
	s_delay_alu instid0(VALU_DEP_1)
	v_cmpx_gt_u64_e32 0x43700001, v[12:13]
	s_xor_b32 s5, exec_lo, s0
	s_cbranch_execz .LBB9_73
; %bb.66:                               ;   in Loop: Header=BB9_16 Depth=1
	v_mov_b32_e32 v6, 0
	s_mov_b32 s6, exec_lo
	v_cmpx_ne_u32_e32 0, v22
	s_cbranch_execz .LBB9_72
; %bb.67:                               ;   in Loop: Header=BB9_16 Depth=1
	v_bfe_u32 v17, v22, 23, 8
	v_and_b32_e32 v7, 0x7fffff, v22
	s_delay_alu instid0(VALU_DEP_2) | instskip(SKIP_2) | instid1(VALU_DEP_3)
	v_sub_nc_u32_e64 v6, 0x78, v17 clamp
	v_cmp_eq_u32_e32 vcc_lo, 0, v17
	v_add_nc_u32_e32 v17, 0xffffff89, v17
	v_cndmask_b32_e64 v23, v6, 0x77, vcc_lo
	v_or_b32_e32 v6, 0x800000, v7
	s_delay_alu instid0(VALU_DEP_1) | instskip(NEXT) | instid1(VALU_DEP_1)
	v_cndmask_b32_e32 v12, v6, v7, vcc_lo
	v_lshrrev_b64 v[26:27], v23, v[12:13]
	v_add_nc_u32_e32 v24, 20, v23
	s_delay_alu instid0(VALU_DEP_1) | instskip(SKIP_1) | instid1(VALU_DEP_1)
	v_lshlrev_b64_e64 v[6:7], v24, -1
	v_add_nc_u32_e32 v24, 19, v23
	v_lshlrev_b64_e64 v[24:25], v24, 1
	s_delay_alu instid0(VALU_DEP_3) | instskip(NEXT) | instid1(VALU_DEP_4)
	v_bfi_b32 v7, v7, 0, 0
	v_bfi_b32 v6, v6, 0, v12
	v_and_b32_e32 v12, 0x100000, v26
	s_delay_alu instid0(VALU_DEP_2) | instskip(NEXT) | instid1(VALU_DEP_2)
	v_cmp_eq_u64_e64 s0, v[6:7], v[24:25]
	v_cmp_eq_u64_e64 s1, 0, v[12:13]
	v_cndmask_b32_e64 v6, v17, 0xffffff8a, vcc_lo
	v_lshrrev_b32_e32 v7, 23, v26
                                        ; implicit-def: $vgpr17
	s_and_b32 vcc_lo, s1, s0
	s_delay_alu instid0(VALU_DEP_1) | instskip(SKIP_4) | instid1(VALU_DEP_1)
	v_add3_u32 v23, v6, v23, v7
	v_subrev_co_ci_u32_e64 v12, null, 0, v26, vcc_lo
	s_mov_b32 s0, exec_lo
	v_add_nc_u32_e32 v24, -1, v23
	v_and_b32_e32 v6, 0xfffff, v12
	v_add_nc_u32_e32 v12, v6, v26
                                        ; implicit-def: $vgpr6_vgpr7
	s_delay_alu instid0(VALU_DEP_3)
	v_cmpx_ne_u32_e32 0, v24
	s_xor_b32 s0, exec_lo, s0
	s_cbranch_execz .LBB9_69
; %bb.68:                               ;   in Loop: Header=BB9_16 Depth=1
	s_delay_alu instid0(VALU_DEP_2) | instskip(SKIP_2) | instid1(VALU_DEP_2)
	v_and_b32_e32 v26, 0x1000000, v12
	v_mov_b32_e32 v27, v13
	v_bfe_u32 v6, v12, 24, 1
	v_cmp_eq_u64_e32 vcc_lo, 0, v[26:27]
	s_delay_alu instid0(VALU_DEP_2)
	v_lshrrev_b64 v[6:7], v6, v[12:13]
	v_cndmask_b32_e32 v17, v23, v24, vcc_lo
.LBB9_69:                               ;   in Loop: Header=BB9_16 Depth=1
	s_and_not1_saveexec_b32 s0, s0
; %bb.70:                               ;   in Loop: Header=BB9_16 Depth=1
	v_mov_b64_e32 v[6:7], v[12:13]
	v_bfe_u32 v17, v12, 23, 1
; %bb.71:                               ;   in Loop: Header=BB9_16 Depth=1
	s_or_b32 exec_lo, exec_lo, s0
	s_delay_alu instid0(VALU_DEP_2) | instskip(NEXT) | instid1(VALU_DEP_2)
	v_lshrrev_b64 v[6:7], 20, v[6:7]
	v_dual_lshrrev_b32 v12, 24, v22 :: v_dual_min_i32 v22, 15, v17
	v_cmp_gt_i32_e32 vcc_lo, 16, v17
	v_cmp_eq_u32_e64 s0, 0, v17
	s_delay_alu instid0(VALU_DEP_3) | instskip(SKIP_1) | instid1(VALU_DEP_2)
	v_and_b32_e32 v12, 0x80, v12
	v_dual_cndmask_b32 v7, 0, v7 :: v_dual_cndmask_b32 v6, 7, v6
	v_lshl_or_b32 v12, v22, 3, v12
	s_delay_alu instid0(VALU_DEP_2) | instskip(NEXT) | instid1(VALU_DEP_2)
	v_cmp_eq_u64_e32 vcc_lo, 0, v[6:7]
	v_and_or_b32 v6, v6, 7, v12
	s_and_b32 s0, s0, vcc_lo
	s_delay_alu instid0(VALU_DEP_1) | instid1(SALU_CYCLE_1)
	v_cndmask_b32_e64 v6, v6, 0, s0
.LBB9_72:                               ;   in Loop: Header=BB9_16 Depth=1
	s_or_b32 exec_lo, exec_lo, s6
                                        ; implicit-def: $vgpr22
.LBB9_73:                               ;   in Loop: Header=BB9_16 Depth=1
	s_and_not1_saveexec_b32 s0, s5
; %bb.74:                               ;   in Loop: Header=BB9_16 Depth=1
	v_lshrrev_b32_e32 v6, 24, v22
	s_delay_alu instid0(VALU_DEP_1)
	v_or_b32_e32 v6, 0x7f, v6
; %bb.75:                               ;   in Loop: Header=BB9_16 Depth=1
	s_or_b32 exec_lo, exec_lo, s0
.LBB9_76:                               ;   in Loop: Header=BB9_16 Depth=1
	s_delay_alu instid0(SALU_CYCLE_1) | instskip(SKIP_4) | instid1(VALU_DEP_1)
	s_or_b32 exec_lo, exec_lo, s4
	v_lshrrev_b32_e32 v7, 16, v8
	s_mov_b32 s4, exec_lo
	global_store_b8 v[2:3], v6, off offset:4
	v_cvt_f32_f16_e32 v7, v7
	v_mul_f32_e32 v7, v1, v7
	s_delay_alu instid0(VALU_DEP_1) | instskip(NEXT) | instid1(VALU_DEP_1)
	v_minmax_num_f32 v8, v7, s3, 0xc3600000
	v_and_b32_e32 v12, 0x7f800000, v8
	s_wait_xcnt 0x0
	s_delay_alu instid0(VALU_DEP_1)
	v_cmpx_ne_u64_e32 0x7f800000, v[12:13]
	s_cbranch_execz .LBB9_88
; %bb.77:                               ;   in Loop: Header=BB9_16 Depth=1
	v_and_b32_e32 v12, 0x7fffffff, v8
                                        ; implicit-def: $vgpr4
	s_mov_b32 s0, exec_lo
	s_delay_alu instid0(VALU_DEP_1)
	v_cmpx_gt_u64_e32 0x43700001, v[12:13]
	s_xor_b32 s5, exec_lo, s0
	s_cbranch_execz .LBB9_85
; %bb.78:                               ;   in Loop: Header=BB9_16 Depth=1
	v_mov_b32_e32 v4, 0
	s_mov_b32 s6, exec_lo
	v_cmpx_ne_u32_e32 0, v8
	s_cbranch_execz .LBB9_84
; %bb.79:                               ;   in Loop: Header=BB9_16 Depth=1
	v_bfe_u32 v4, v8, 23, 8
	v_and_b32_e32 v7, 0x7fffff, v8
	s_delay_alu instid0(VALU_DEP_2) | instskip(SKIP_2) | instid1(VALU_DEP_3)
	v_sub_nc_u32_e64 v6, 0x78, v4 clamp
	v_cmp_eq_u32_e32 vcc_lo, 0, v4
	v_add_nc_u32_e32 v4, 0xffffff89, v4
	v_cndmask_b32_e64 v17, v6, 0x77, vcc_lo
	v_or_b32_e32 v6, 0x800000, v7
	s_delay_alu instid0(VALU_DEP_3) | instskip(NEXT) | instid1(VALU_DEP_2)
	v_cndmask_b32_e64 v4, v4, 0xffffff8a, vcc_lo
	v_dual_add_nc_u32 v22, 20, v17 :: v_dual_cndmask_b32 v12, v6, v7, vcc_lo
	s_delay_alu instid0(VALU_DEP_1) | instskip(NEXT) | instid1(VALU_DEP_2)
	v_lshlrev_b64_e64 v[6:7], v22, -1
	v_lshrrev_b64 v[24:25], v17, v[12:13]
	v_add_nc_u32_e32 v22, 19, v17
	s_delay_alu instid0(VALU_DEP_1) | instskip(NEXT) | instid1(VALU_DEP_4)
	v_lshlrev_b64_e64 v[22:23], v22, 1
	v_bfi_b32 v7, v7, 0, 0
	v_bfi_b32 v6, v6, 0, v12
	v_and_b32_e32 v12, 0x100000, v24
	s_delay_alu instid0(VALU_DEP_2) | instskip(NEXT) | instid1(VALU_DEP_2)
	v_cmp_eq_u64_e64 s0, v[6:7], v[22:23]
	v_cmp_eq_u64_e64 s1, 0, v[12:13]
	v_lshrrev_b32_e32 v6, 23, v24
	s_delay_alu instid0(VALU_DEP_1) | instskip(SKIP_3) | instid1(VALU_DEP_1)
	v_add3_u32 v17, v4, v17, v6
	s_and_b32 vcc_lo, s1, s0
	s_mov_b32 s0, exec_lo
	v_subrev_co_ci_u32_e64 v7, null, 0, v24, vcc_lo
	v_and_b32_e32 v4, 0xfffff, v7
	v_add_nc_u32_e32 v22, -1, v17
                                        ; implicit-def: $vgpr6_vgpr7
	s_delay_alu instid0(VALU_DEP_2) | instskip(NEXT) | instid1(VALU_DEP_2)
	v_add_nc_u32_e32 v12, v4, v24
                                        ; implicit-def: $vgpr4
	v_cmpx_ne_u32_e32 0, v22
	s_xor_b32 s0, exec_lo, s0
	s_cbranch_execz .LBB9_81
; %bb.80:                               ;   in Loop: Header=BB9_16 Depth=1
	s_delay_alu instid0(VALU_DEP_2) | instskip(SKIP_2) | instid1(VALU_DEP_2)
	v_and_b32_e32 v24, 0x1000000, v12
	v_mov_b32_e32 v25, v13
	v_bfe_u32 v4, v12, 24, 1
	v_cmp_eq_u64_e32 vcc_lo, 0, v[24:25]
	s_delay_alu instid0(VALU_DEP_2)
	v_lshrrev_b64 v[6:7], v4, v[12:13]
	v_cndmask_b32_e32 v4, v17, v22, vcc_lo
.LBB9_81:                               ;   in Loop: Header=BB9_16 Depth=1
	s_and_not1_saveexec_b32 s0, s0
; %bb.82:                               ;   in Loop: Header=BB9_16 Depth=1
	v_mov_b64_e32 v[6:7], v[12:13]
	v_bfe_u32 v4, v12, 23, 1
; %bb.83:                               ;   in Loop: Header=BB9_16 Depth=1
	s_or_b32 exec_lo, exec_lo, s0
	s_delay_alu instid0(VALU_DEP_2) | instskip(NEXT) | instid1(VALU_DEP_2)
	v_lshrrev_b64 v[6:7], 20, v[6:7]
	v_cmp_gt_i32_e32 vcc_lo, 16, v4
	v_lshrrev_b32_e32 v8, 24, v8
	v_min_i32_e32 v12, 15, v4
	v_cmp_eq_u32_e64 s0, 0, v4
	v_cndmask_b32_e32 v7, 0, v7, vcc_lo
	s_delay_alu instid0(VALU_DEP_4) | instskip(SKIP_1) | instid1(VALU_DEP_2)
	v_and_b32_e32 v8, 0x80, v8
	v_cndmask_b32_e32 v6, 7, v6, vcc_lo
	v_lshl_or_b32 v8, v12, 3, v8
	s_delay_alu instid0(VALU_DEP_2) | instskip(NEXT) | instid1(VALU_DEP_2)
	v_cmp_eq_u64_e32 vcc_lo, 0, v[6:7]
	v_and_or_b32 v4, v6, 7, v8
	s_and_b32 s0, s0, vcc_lo
	s_delay_alu instid0(VALU_DEP_1) | instid1(SALU_CYCLE_1)
	v_cndmask_b32_e64 v4, v4, 0, s0
.LBB9_84:                               ;   in Loop: Header=BB9_16 Depth=1
	s_or_b32 exec_lo, exec_lo, s6
                                        ; implicit-def: $vgpr8
.LBB9_85:                               ;   in Loop: Header=BB9_16 Depth=1
	s_and_not1_saveexec_b32 s0, s5
; %bb.86:                               ;   in Loop: Header=BB9_16 Depth=1
	v_lshrrev_b32_e32 v4, 24, v8
	s_delay_alu instid0(VALU_DEP_1)
	v_or_b32_e32 v4, 0x7f, v4
; %bb.87:                               ;   in Loop: Header=BB9_16 Depth=1
	s_or_b32 exec_lo, exec_lo, s0
.LBB9_88:                               ;   in Loop: Header=BB9_16 Depth=1
	s_delay_alu instid0(SALU_CYCLE_1)
	s_or_b32 exec_lo, exec_lo, s4
	v_lshrrev_b32_e32 v6, 16, v5
	s_mov_b32 s4, exec_lo
	global_store_b8 v[2:3], v4, off offset:5
	v_cvt_f32_f16_e32 v7, v6
	v_cvt_f32_f16_e32 v6, v5
	s_delay_alu instid0(VALU_DEP_1) | instskip(NEXT) | instid1(VALU_DEP_1)
	v_pk_mul_f32 v[6:7], v[14:15], v[6:7]
	v_cvt_pk_f16_f32 v5, v6, v7
	v_mov_b32_e32 v6, 0x80
	s_delay_alu instid0(VALU_DEP_2) | instskip(NEXT) | instid1(VALU_DEP_1)
	v_pk_mul_f16 v7, v9, v5
	v_cvt_f32_f16_e32 v5, v7
	s_delay_alu instid0(VALU_DEP_1) | instskip(NEXT) | instid1(VALU_DEP_1)
	v_mul_f32_e32 v5, v1, v5
	v_minmax_num_f32 v8, v5, s3, 0xc3600000
	v_mov_b32_e32 v5, 0x80
	s_delay_alu instid0(VALU_DEP_2) | instskip(SKIP_1) | instid1(VALU_DEP_1)
	v_and_b32_e32 v12, 0x7f800000, v8
	s_wait_xcnt 0x0
	v_cmpx_ne_u64_e32 0x7f800000, v[12:13]
	s_cbranch_execz .LBB9_100
; %bb.89:                               ;   in Loop: Header=BB9_16 Depth=1
	v_and_b32_e32 v12, 0x7fffffff, v8
                                        ; implicit-def: $vgpr5
	s_mov_b32 s0, exec_lo
	s_delay_alu instid0(VALU_DEP_1)
	v_cmpx_gt_u64_e32 0x43700001, v[12:13]
	s_xor_b32 s5, exec_lo, s0
	s_cbranch_execz .LBB9_97
; %bb.90:                               ;   in Loop: Header=BB9_16 Depth=1
	v_mov_b32_e32 v5, 0
	s_mov_b32 s6, exec_lo
	v_cmpx_ne_u32_e32 0, v8
	s_cbranch_execz .LBB9_96
; %bb.91:                               ;   in Loop: Header=BB9_16 Depth=1
	v_bfe_u32 v9, v8, 23, 8
	v_and_b32_e32 v5, 0x7fffff, v8
	s_delay_alu instid0(VALU_DEP_2) | instskip(SKIP_2) | instid1(VALU_DEP_3)
	v_sub_nc_u32_e64 v4, 0x78, v9 clamp
	v_cmp_eq_u32_e32 vcc_lo, 0, v9
	v_add_nc_u32_e32 v9, 0xffffff89, v9
	v_cndmask_b32_e64 v17, v4, 0x77, vcc_lo
	v_or_b32_e32 v4, 0x800000, v5
	s_delay_alu instid0(VALU_DEP_1) | instskip(NEXT) | instid1(VALU_DEP_1)
	v_cndmask_b32_e32 v12, v4, v5, vcc_lo
	v_lshrrev_b64 v[24:25], v17, v[12:13]
	v_add_nc_u32_e32 v22, 20, v17
	s_delay_alu instid0(VALU_DEP_1) | instskip(SKIP_1) | instid1(VALU_DEP_1)
	v_lshlrev_b64_e64 v[4:5], v22, -1
	v_add_nc_u32_e32 v22, 19, v17
	v_lshlrev_b64_e64 v[22:23], v22, 1
	s_delay_alu instid0(VALU_DEP_3) | instskip(NEXT) | instid1(VALU_DEP_4)
	v_bfi_b32 v5, v5, 0, 0
	v_bfi_b32 v4, v4, 0, v12
	v_and_b32_e32 v12, 0x100000, v24
	s_delay_alu instid0(VALU_DEP_2) | instskip(NEXT) | instid1(VALU_DEP_2)
	v_cmp_eq_u64_e64 s0, v[4:5], v[22:23]
	v_cmp_eq_u64_e64 s1, 0, v[12:13]
	v_cndmask_b32_e64 v4, v9, 0xffffff8a, vcc_lo
	v_lshrrev_b32_e32 v5, 23, v24
	s_and_b32 vcc_lo, s1, s0
	s_delay_alu instid0(VALU_DEP_1) | instskip(SKIP_4) | instid1(VALU_DEP_1)
	v_add3_u32 v17, v4, v17, v5
	v_subrev_co_ci_u32_e64 v9, null, 0, v24, vcc_lo
	s_mov_b32 s0, exec_lo
	v_add_nc_u32_e32 v22, -1, v17
	v_and_b32_e32 v4, 0xfffff, v9
                                        ; implicit-def: $vgpr9
	v_add_nc_u32_e32 v12, v4, v24
                                        ; implicit-def: $vgpr4_vgpr5
	s_delay_alu instid0(VALU_DEP_3)
	v_cmpx_ne_u32_e32 0, v22
	s_xor_b32 s0, exec_lo, s0
	s_cbranch_execz .LBB9_93
; %bb.92:                               ;   in Loop: Header=BB9_16 Depth=1
	s_delay_alu instid0(VALU_DEP_2) | instskip(SKIP_2) | instid1(VALU_DEP_2)
	v_and_b32_e32 v24, 0x1000000, v12
	v_mov_b32_e32 v25, v13
	v_bfe_u32 v4, v12, 24, 1
	v_cmp_eq_u64_e32 vcc_lo, 0, v[24:25]
	s_delay_alu instid0(VALU_DEP_2)
	v_lshrrev_b64 v[4:5], v4, v[12:13]
	v_cndmask_b32_e32 v9, v17, v22, vcc_lo
.LBB9_93:                               ;   in Loop: Header=BB9_16 Depth=1
	s_and_not1_saveexec_b32 s0, s0
; %bb.94:                               ;   in Loop: Header=BB9_16 Depth=1
	v_mov_b64_e32 v[4:5], v[12:13]
	v_bfe_u32 v9, v12, 23, 1
; %bb.95:                               ;   in Loop: Header=BB9_16 Depth=1
	s_or_b32 exec_lo, exec_lo, s0
	s_delay_alu instid0(VALU_DEP_2) | instskip(NEXT) | instid1(VALU_DEP_2)
	v_lshrrev_b64 v[4:5], 20, v[4:5]
	v_dual_lshrrev_b32 v8, 24, v8 :: v_dual_min_i32 v12, 15, v9
	v_cmp_gt_i32_e32 vcc_lo, 16, v9
	v_cmp_eq_u32_e64 s0, 0, v9
	s_delay_alu instid0(VALU_DEP_3) | instskip(SKIP_1) | instid1(VALU_DEP_2)
	v_and_b32_e32 v8, 0x80, v8
	v_dual_cndmask_b32 v5, 0, v5 :: v_dual_cndmask_b32 v4, 7, v4
	v_lshl_or_b32 v8, v12, 3, v8
	s_delay_alu instid0(VALU_DEP_2) | instskip(NEXT) | instid1(VALU_DEP_2)
	v_cmp_eq_u64_e32 vcc_lo, 0, v[4:5]
	v_and_or_b32 v4, v4, 7, v8
	s_and_b32 s0, s0, vcc_lo
	s_delay_alu instid0(VALU_DEP_1) | instid1(SALU_CYCLE_1)
	v_cndmask_b32_e64 v5, v4, 0, s0
.LBB9_96:                               ;   in Loop: Header=BB9_16 Depth=1
	s_or_b32 exec_lo, exec_lo, s6
                                        ; implicit-def: $vgpr8
.LBB9_97:                               ;   in Loop: Header=BB9_16 Depth=1
	s_and_not1_saveexec_b32 s0, s5
; %bb.98:                               ;   in Loop: Header=BB9_16 Depth=1
	v_lshrrev_b32_e32 v4, 24, v8
	s_delay_alu instid0(VALU_DEP_1)
	v_or_b32_e32 v5, 0x7f, v4
; %bb.99:                               ;   in Loop: Header=BB9_16 Depth=1
	s_or_b32 exec_lo, exec_lo, s0
.LBB9_100:                              ;   in Loop: Header=BB9_16 Depth=1
	s_delay_alu instid0(SALU_CYCLE_1) | instskip(SKIP_4) | instid1(VALU_DEP_1)
	s_or_b32 exec_lo, exec_lo, s4
	v_lshrrev_b32_e32 v4, 16, v7
	s_mov_b32 s4, exec_lo
	global_store_b8 v[2:3], v5, off offset:6
	v_cvt_f32_f16_e32 v4, v4
	v_mul_f32_e32 v4, v1, v4
	s_delay_alu instid0(VALU_DEP_1) | instskip(NEXT) | instid1(VALU_DEP_1)
	v_minmax_num_f32 v7, v4, s3, 0xc3600000
	v_and_b32_e32 v12, 0x7f800000, v7
	s_wait_xcnt 0x0
	s_delay_alu instid0(VALU_DEP_1)
	v_cmpx_ne_u64_e32 0x7f800000, v[12:13]
	s_cbranch_execz .LBB9_15
; %bb.101:                              ;   in Loop: Header=BB9_16 Depth=1
	v_and_b32_e32 v12, 0x7fffffff, v7
                                        ; implicit-def: $vgpr6
	s_mov_b32 s0, exec_lo
	s_delay_alu instid0(VALU_DEP_1)
	v_cmpx_gt_u64_e32 0x43700001, v[12:13]
	s_xor_b32 s5, exec_lo, s0
	s_cbranch_execz .LBB9_109
; %bb.102:                              ;   in Loop: Header=BB9_16 Depth=1
	v_mov_b32_e32 v6, 0
	s_mov_b32 s6, exec_lo
	v_cmpx_ne_u32_e32 0, v7
	s_cbranch_execz .LBB9_108
; %bb.103:                              ;   in Loop: Header=BB9_16 Depth=1
	v_bfe_u32 v6, v7, 23, 8
	v_and_b32_e32 v5, 0x7fffff, v7
	s_delay_alu instid0(VALU_DEP_2) | instskip(SKIP_2) | instid1(VALU_DEP_3)
	v_sub_nc_u32_e64 v4, 0x78, v6 clamp
	v_cmp_eq_u32_e32 vcc_lo, 0, v6
	v_add_nc_u32_e32 v6, 0xffffff89, v6
	v_cndmask_b32_e64 v17, v4, 0x77, vcc_lo
	v_or_b32_e32 v4, 0x800000, v5
	s_delay_alu instid0(VALU_DEP_1) | instskip(NEXT) | instid1(VALU_DEP_1)
	v_cndmask_b32_e32 v12, v4, v5, vcc_lo
	v_lshrrev_b64 v[22:23], v17, v[12:13]
	v_add_nc_u32_e32 v8, 20, v17
	s_delay_alu instid0(VALU_DEP_1) | instskip(SKIP_1) | instid1(VALU_DEP_1)
	v_lshlrev_b64_e64 v[4:5], v8, -1
	v_add_nc_u32_e32 v8, 19, v17
	v_lshlrev_b64_e64 v[8:9], v8, 1
	s_delay_alu instid0(VALU_DEP_3) | instskip(NEXT) | instid1(VALU_DEP_4)
	v_bfi_b32 v5, v5, 0, 0
	v_bfi_b32 v4, v4, 0, v12
	v_and_b32_e32 v12, 0x100000, v22
	s_delay_alu instid0(VALU_DEP_2) | instskip(NEXT) | instid1(VALU_DEP_2)
	v_cmp_eq_u64_e64 s0, v[4:5], v[8:9]
	v_cmp_eq_u64_e64 s1, 0, v[12:13]
	v_cndmask_b32_e64 v4, v6, 0xffffff8a, vcc_lo
	v_lshrrev_b32_e32 v5, 23, v22
	s_and_b32 vcc_lo, s1, s0
	s_delay_alu instid0(VALU_DEP_1) | instskip(SKIP_4) | instid1(VALU_DEP_1)
	v_add3_u32 v8, v4, v17, v5
	v_subrev_co_ci_u32_e64 v6, null, 0, v22, vcc_lo
	s_mov_b32 s0, exec_lo
	v_add_nc_u32_e32 v9, -1, v8
	v_and_b32_e32 v4, 0xfffff, v6
                                        ; implicit-def: $vgpr6
	v_add_nc_u32_e32 v12, v4, v22
                                        ; implicit-def: $vgpr4_vgpr5
	s_delay_alu instid0(VALU_DEP_3)
	v_cmpx_ne_u32_e32 0, v9
	s_xor_b32 s0, exec_lo, s0
	s_cbranch_execz .LBB9_105
; %bb.104:                              ;   in Loop: Header=BB9_16 Depth=1
	s_delay_alu instid0(VALU_DEP_2) | instskip(SKIP_2) | instid1(VALU_DEP_2)
	v_and_b32_e32 v22, 0x1000000, v12
	v_mov_b32_e32 v23, v13
	v_bfe_u32 v4, v12, 24, 1
	v_cmp_eq_u64_e32 vcc_lo, 0, v[22:23]
	s_delay_alu instid0(VALU_DEP_2)
	v_lshrrev_b64 v[4:5], v4, v[12:13]
	v_cndmask_b32_e32 v6, v8, v9, vcc_lo
.LBB9_105:                              ;   in Loop: Header=BB9_16 Depth=1
	s_and_not1_saveexec_b32 s0, s0
; %bb.106:                              ;   in Loop: Header=BB9_16 Depth=1
	v_mov_b64_e32 v[4:5], v[12:13]
	v_bfe_u32 v6, v12, 23, 1
; %bb.107:                              ;   in Loop: Header=BB9_16 Depth=1
	s_or_b32 exec_lo, exec_lo, s0
	s_delay_alu instid0(VALU_DEP_2) | instskip(NEXT) | instid1(VALU_DEP_2)
	v_lshrrev_b64 v[4:5], 20, v[4:5]
	v_dual_lshrrev_b32 v7, 24, v7 :: v_dual_min_i32 v8, 15, v6
	v_cmp_gt_i32_e32 vcc_lo, 16, v6
	v_cmp_eq_u32_e64 s0, 0, v6
	s_delay_alu instid0(VALU_DEP_3) | instskip(SKIP_1) | instid1(VALU_DEP_2)
	v_and_b32_e32 v7, 0x80, v7
	v_dual_cndmask_b32 v5, 0, v5 :: v_dual_cndmask_b32 v4, 7, v4
	v_lshl_or_b32 v7, v8, 3, v7
	s_delay_alu instid0(VALU_DEP_2) | instskip(NEXT) | instid1(VALU_DEP_2)
	v_cmp_eq_u64_e32 vcc_lo, 0, v[4:5]
	v_and_or_b32 v4, v4, 7, v7
	s_and_b32 s0, s0, vcc_lo
	s_delay_alu instid0(VALU_DEP_1) | instid1(SALU_CYCLE_1)
	v_cndmask_b32_e64 v6, v4, 0, s0
.LBB9_108:                              ;   in Loop: Header=BB9_16 Depth=1
	s_or_b32 exec_lo, exec_lo, s6
                                        ; implicit-def: $vgpr7
.LBB9_109:                              ;   in Loop: Header=BB9_16 Depth=1
	s_and_not1_saveexec_b32 s0, s5
	s_cbranch_execz .LBB9_14
; %bb.110:                              ;   in Loop: Header=BB9_16 Depth=1
	v_lshrrev_b32_e32 v4, 24, v7
	s_delay_alu instid0(VALU_DEP_1)
	v_or_b32_e32 v6, 0x7f, v4
	s_branch .LBB9_14
.LBB9_111:
	s_endpgm
	.section	.rodata,"a",@progbits
	.p2align	6, 0x0
	.amdhsa_kernel _ZN4vllm42fused_add_rms_norm_static_fp8_quant_kernelIN3c104HalfELi8ENS1_15Float8_e4m3fnuzEEENSt9enable_ifIXaagtT0_Li0Esr12_typeConvertIT_EE6existsEvE4typeEPT1_PS5_iSA_PKS5_PKffii
		.amdhsa_group_segment_fixed_size 68
		.amdhsa_private_segment_fixed_size 0
		.amdhsa_kernarg_size 320
		.amdhsa_user_sgpr_count 2
		.amdhsa_user_sgpr_dispatch_ptr 0
		.amdhsa_user_sgpr_queue_ptr 0
		.amdhsa_user_sgpr_kernarg_segment_ptr 1
		.amdhsa_user_sgpr_dispatch_id 0
		.amdhsa_user_sgpr_kernarg_preload_length 0
		.amdhsa_user_sgpr_kernarg_preload_offset 0
		.amdhsa_user_sgpr_private_segment_size 0
		.amdhsa_wavefront_size32 1
		.amdhsa_uses_dynamic_stack 0
		.amdhsa_enable_private_segment 0
		.amdhsa_system_sgpr_workgroup_id_x 1
		.amdhsa_system_sgpr_workgroup_id_y 0
		.amdhsa_system_sgpr_workgroup_id_z 0
		.amdhsa_system_sgpr_workgroup_info 0
		.amdhsa_system_vgpr_workitem_id 0
		.amdhsa_next_free_vgpr 30
		.amdhsa_next_free_sgpr 19
		.amdhsa_named_barrier_count 0
		.amdhsa_reserve_vcc 1
		.amdhsa_float_round_mode_32 0
		.amdhsa_float_round_mode_16_64 0
		.amdhsa_float_denorm_mode_32 3
		.amdhsa_float_denorm_mode_16_64 3
		.amdhsa_fp16_overflow 0
		.amdhsa_memory_ordered 1
		.amdhsa_forward_progress 1
		.amdhsa_inst_pref_size 50
		.amdhsa_round_robin_scheduling 0
		.amdhsa_exception_fp_ieee_invalid_op 0
		.amdhsa_exception_fp_denorm_src 0
		.amdhsa_exception_fp_ieee_div_zero 0
		.amdhsa_exception_fp_ieee_overflow 0
		.amdhsa_exception_fp_ieee_underflow 0
		.amdhsa_exception_fp_ieee_inexact 0
		.amdhsa_exception_int_div_zero 0
	.end_amdhsa_kernel
	.section	.text._ZN4vllm42fused_add_rms_norm_static_fp8_quant_kernelIN3c104HalfELi8ENS1_15Float8_e4m3fnuzEEENSt9enable_ifIXaagtT0_Li0Esr12_typeConvertIT_EE6existsEvE4typeEPT1_PS5_iSA_PKS5_PKffii,"axG",@progbits,_ZN4vllm42fused_add_rms_norm_static_fp8_quant_kernelIN3c104HalfELi8ENS1_15Float8_e4m3fnuzEEENSt9enable_ifIXaagtT0_Li0Esr12_typeConvertIT_EE6existsEvE4typeEPT1_PS5_iSA_PKS5_PKffii,comdat
.Lfunc_end9:
	.size	_ZN4vllm42fused_add_rms_norm_static_fp8_quant_kernelIN3c104HalfELi8ENS1_15Float8_e4m3fnuzEEENSt9enable_ifIXaagtT0_Li0Esr12_typeConvertIT_EE6existsEvE4typeEPT1_PS5_iSA_PKS5_PKffii, .Lfunc_end9-_ZN4vllm42fused_add_rms_norm_static_fp8_quant_kernelIN3c104HalfELi8ENS1_15Float8_e4m3fnuzEEENSt9enable_ifIXaagtT0_Li0Esr12_typeConvertIT_EE6existsEvE4typeEPT1_PS5_iSA_PKS5_PKffii
                                        ; -- End function
	.set _ZN4vllm42fused_add_rms_norm_static_fp8_quant_kernelIN3c104HalfELi8ENS1_15Float8_e4m3fnuzEEENSt9enable_ifIXaagtT0_Li0Esr12_typeConvertIT_EE6existsEvE4typeEPT1_PS5_iSA_PKS5_PKffii.num_vgpr, 30
	.set _ZN4vllm42fused_add_rms_norm_static_fp8_quant_kernelIN3c104HalfELi8ENS1_15Float8_e4m3fnuzEEENSt9enable_ifIXaagtT0_Li0Esr12_typeConvertIT_EE6existsEvE4typeEPT1_PS5_iSA_PKS5_PKffii.num_agpr, 0
	.set _ZN4vllm42fused_add_rms_norm_static_fp8_quant_kernelIN3c104HalfELi8ENS1_15Float8_e4m3fnuzEEENSt9enable_ifIXaagtT0_Li0Esr12_typeConvertIT_EE6existsEvE4typeEPT1_PS5_iSA_PKS5_PKffii.numbered_sgpr, 19
	.set _ZN4vllm42fused_add_rms_norm_static_fp8_quant_kernelIN3c104HalfELi8ENS1_15Float8_e4m3fnuzEEENSt9enable_ifIXaagtT0_Li0Esr12_typeConvertIT_EE6existsEvE4typeEPT1_PS5_iSA_PKS5_PKffii.num_named_barrier, 0
	.set _ZN4vllm42fused_add_rms_norm_static_fp8_quant_kernelIN3c104HalfELi8ENS1_15Float8_e4m3fnuzEEENSt9enable_ifIXaagtT0_Li0Esr12_typeConvertIT_EE6existsEvE4typeEPT1_PS5_iSA_PKS5_PKffii.private_seg_size, 0
	.set _ZN4vllm42fused_add_rms_norm_static_fp8_quant_kernelIN3c104HalfELi8ENS1_15Float8_e4m3fnuzEEENSt9enable_ifIXaagtT0_Li0Esr12_typeConvertIT_EE6existsEvE4typeEPT1_PS5_iSA_PKS5_PKffii.uses_vcc, 1
	.set _ZN4vllm42fused_add_rms_norm_static_fp8_quant_kernelIN3c104HalfELi8ENS1_15Float8_e4m3fnuzEEENSt9enable_ifIXaagtT0_Li0Esr12_typeConvertIT_EE6existsEvE4typeEPT1_PS5_iSA_PKS5_PKffii.uses_flat_scratch, 0
	.set _ZN4vllm42fused_add_rms_norm_static_fp8_quant_kernelIN3c104HalfELi8ENS1_15Float8_e4m3fnuzEEENSt9enable_ifIXaagtT0_Li0Esr12_typeConvertIT_EE6existsEvE4typeEPT1_PS5_iSA_PKS5_PKffii.has_dyn_sized_stack, 0
	.set _ZN4vllm42fused_add_rms_norm_static_fp8_quant_kernelIN3c104HalfELi8ENS1_15Float8_e4m3fnuzEEENSt9enable_ifIXaagtT0_Li0Esr12_typeConvertIT_EE6existsEvE4typeEPT1_PS5_iSA_PKS5_PKffii.has_recursion, 0
	.set _ZN4vllm42fused_add_rms_norm_static_fp8_quant_kernelIN3c104HalfELi8ENS1_15Float8_e4m3fnuzEEENSt9enable_ifIXaagtT0_Li0Esr12_typeConvertIT_EE6existsEvE4typeEPT1_PS5_iSA_PKS5_PKffii.has_indirect_call, 0
	.section	.AMDGPU.csdata,"",@progbits
; Kernel info:
; codeLenInByte = 6296
; TotalNumSgprs: 21
; NumVgprs: 30
; ScratchSize: 0
; MemoryBound: 0
; FloatMode: 240
; IeeeMode: 1
; LDSByteSize: 68 bytes/workgroup (compile time only)
; SGPRBlocks: 0
; VGPRBlocks: 1
; NumSGPRsForWavesPerEU: 21
; NumVGPRsForWavesPerEU: 30
; NamedBarCnt: 0
; Occupancy: 16
; WaveLimiterHint : 0
; COMPUTE_PGM_RSRC2:SCRATCH_EN: 0
; COMPUTE_PGM_RSRC2:USER_SGPR: 2
; COMPUTE_PGM_RSRC2:TRAP_HANDLER: 0
; COMPUTE_PGM_RSRC2:TGID_X_EN: 1
; COMPUTE_PGM_RSRC2:TGID_Y_EN: 0
; COMPUTE_PGM_RSRC2:TGID_Z_EN: 0
; COMPUTE_PGM_RSRC2:TIDIG_COMP_CNT: 0
	.section	.text._ZN4vllm42fused_add_rms_norm_static_fp8_quant_kernelIN3c108BFloat16ELi8ENS1_13Float8_e4m3fnEEENSt9enable_ifIXooeqT0_Li0Entsr12_typeConvertIT_EE6existsEvE4typeEPT1_PS5_iSA_PKS5_PKffii,"axG",@progbits,_ZN4vllm42fused_add_rms_norm_static_fp8_quant_kernelIN3c108BFloat16ELi8ENS1_13Float8_e4m3fnEEENSt9enable_ifIXooeqT0_Li0Entsr12_typeConvertIT_EE6existsEvE4typeEPT1_PS5_iSA_PKS5_PKffii,comdat
	.protected	_ZN4vllm42fused_add_rms_norm_static_fp8_quant_kernelIN3c108BFloat16ELi8ENS1_13Float8_e4m3fnEEENSt9enable_ifIXooeqT0_Li0Entsr12_typeConvertIT_EE6existsEvE4typeEPT1_PS5_iSA_PKS5_PKffii ; -- Begin function _ZN4vllm42fused_add_rms_norm_static_fp8_quant_kernelIN3c108BFloat16ELi8ENS1_13Float8_e4m3fnEEENSt9enable_ifIXooeqT0_Li0Entsr12_typeConvertIT_EE6existsEvE4typeEPT1_PS5_iSA_PKS5_PKffii
	.globl	_ZN4vllm42fused_add_rms_norm_static_fp8_quant_kernelIN3c108BFloat16ELi8ENS1_13Float8_e4m3fnEEENSt9enable_ifIXooeqT0_Li0Entsr12_typeConvertIT_EE6existsEvE4typeEPT1_PS5_iSA_PKS5_PKffii
	.p2align	8
	.type	_ZN4vllm42fused_add_rms_norm_static_fp8_quant_kernelIN3c108BFloat16ELi8ENS1_13Float8_e4m3fnEEENSt9enable_ifIXooeqT0_Li0Entsr12_typeConvertIT_EE6existsEvE4typeEPT1_PS5_iSA_PKS5_PKffii,@function
_ZN4vllm42fused_add_rms_norm_static_fp8_quant_kernelIN3c108BFloat16ELi8ENS1_13Float8_e4m3fnEEENSt9enable_ifIXooeqT0_Li0Entsr12_typeConvertIT_EE6existsEvE4typeEPT1_PS5_iSA_PKS5_PKffii: ; @_ZN4vllm42fused_add_rms_norm_static_fp8_quant_kernelIN3c108BFloat16ELi8ENS1_13Float8_e4m3fnEEENSt9enable_ifIXooeqT0_Li0Entsr12_typeConvertIT_EE6existsEvE4typeEPT1_PS5_iSA_PKS5_PKffii
; %bb.0:
	s_clause 0x1
	s_load_b32 s11, s[0:1], 0x38
	s_load_b64 s[12:13], s[0:1], 0x18
	s_getreg_b32 s14, hwreg(HW_REG_IB_STS2, 6, 4)
	s_mov_b32 s3, exec_lo
                                        ; implicit-def: $sgpr8
                                        ; implicit-def: $sgpr9
	s_wait_kmcnt 0x0
	v_cmp_gt_i32_e64 s2, s11, v0
	v_cmpx_le_i32_e64 s11, v0
	s_xor_b32 s3, exec_lo, s3
	s_cbranch_execz .LBB10_2
; %bb.1:
	s_load_b32 s4, s[0:1], 0x4c
	s_bfe_u32 s5, ttmp6, 0x4000c
	s_and_b32 s6, ttmp6, 15
	s_add_co_i32 s5, s5, 1
	s_delay_alu instid0(SALU_CYCLE_1) | instskip(NEXT) | instid1(SALU_CYCLE_1)
	s_mul_i32 s5, ttmp9, s5
	s_add_co_i32 s6, s6, s5
	s_cmp_eq_u32 s14, 0
	s_cselect_b32 s8, ttmp9, s6
	s_wait_kmcnt 0x0
	s_and_b32 s9, s4, 0xffff
.LBB10_2:
	s_or_saveexec_b32 s3, s3
	s_load_b128 s[4:7], s[0:1], 0x20
	v_dual_mov_b32 v4, 0 :: v_dual_mov_b32 v2, s8
	v_mov_b32_e32 v1, s9
	s_xor_b32 exec_lo, exec_lo, s3
	s_cbranch_execz .LBB10_6
; %bb.3:
	s_clause 0x1
	s_load_b96 s[8:10], s[0:1], 0x8
	s_load_b32 s18, s[0:1], 0x4c
	s_bfe_u32 s15, ttmp6, 0x4000c
	s_and_b32 s16, ttmp6, 15
	s_add_co_i32 s15, s15, 1
	v_dual_mov_b32 v4, 0 :: v_dual_mov_b32 v1, v0
	s_mul_i32 s17, ttmp9, s15
	s_mov_b32 s15, 0
	s_add_co_i32 s16, s16, s17
	s_cmp_eq_u32 s14, 0
	s_cselect_b32 s14, ttmp9, s16
	s_delay_alu instid0(SALU_CYCLE_1)
	s_mul_i32 s16, s11, s14
	s_wait_kmcnt 0x0
	s_mul_i32 s17, s10, s14
	s_and_b32 s10, s18, 0xffff
.LBB10_4:                               ; =>This Inner Loop Header: Depth=1
	v_dual_add_nc_u32 v2, s17, v1 :: v_dual_add_nc_u32 v3, s16, v1
	global_load_u16 v5, v2, s[8:9] scale_offset
	global_load_u16 v6, v3, s[12:13] scale_offset
	s_wait_loadcnt 0x0
	s_wait_xcnt 0x1
	v_dual_lshlrev_b32 v2, 16, v5 :: v_dual_lshlrev_b32 v5, 16, v6
	s_delay_alu instid0(VALU_DEP_1) | instskip(NEXT) | instid1(VALU_DEP_1)
	v_add_f32_e32 v2, v5, v2
	v_bfe_u32 v5, v2, 16, 1
	s_delay_alu instid0(VALU_DEP_1) | instskip(NEXT) | instid1(VALU_DEP_1)
	v_add3_u32 v5, v2, v5, 0x7fff
	v_lshrrev_b32_e32 v5, 16, v5
	v_cmp_o_f32_e32 vcc_lo, v2, v2
	s_delay_alu instid0(VALU_DEP_2) | instskip(NEXT) | instid1(VALU_DEP_1)
	v_cndmask_b32_e32 v2, 0x7fc0, v5, vcc_lo
	v_dual_add_nc_u32 v1, s10, v1 :: v_dual_lshlrev_b32 v5, 16, v2
	s_delay_alu instid0(VALU_DEP_1)
	v_cmp_le_i32_e32 vcc_lo, s11, v1
	global_store_b16 v3, v2, s[12:13] scale_offset
	v_fmac_f32_e32 v4, v5, v5
	s_or_b32 s15, vcc_lo, s15
	s_wait_xcnt 0x0
	s_and_not1_b32 exec_lo, exec_lo, s15
	s_cbranch_execnz .LBB10_4
; %bb.5:
	s_or_b32 exec_lo, exec_lo, s15
	v_dual_mov_b32 v2, s14 :: v_dual_mov_b32 v1, s10
.LBB10_6:
	s_or_b32 exec_lo, exec_lo, s3
	v_mbcnt_lo_u32_b32 v3, -1, 0
	v_and_b32_e32 v6, 0x3c0, v0
	s_load_b64 s[8:9], s[0:1], 0x0
	s_mov_b32 s3, exec_lo
	s_delay_alu instid0(VALU_DEP_2) | instskip(NEXT) | instid1(VALU_DEP_2)
	v_cmp_ne_u32_e32 vcc_lo, 63, v3
	v_sub_nc_u32_e64 v6, v1, v6 clamp
	v_add_nc_u32_e32 v8, 1, v3
	v_add_co_ci_u32_e64 v5, null, 0, v3, vcc_lo
	v_cmp_gt_u32_e32 vcc_lo, 62, v3
	s_delay_alu instid0(VALU_DEP_2)
	v_lshlrev_b32_e32 v5, 2, v5
	v_cndmask_b32_e64 v7, 0, 2, vcc_lo
	v_cmp_lt_u32_e32 vcc_lo, v8, v6
	v_add_nc_u32_e32 v8, 2, v3
	ds_bpermute_b32 v5, v5, v4
	v_add_lshl_u32 v7, v7, v3, 2
	s_wait_dscnt 0x0
	v_add_f32_e32 v5, v4, v5
	s_delay_alu instid0(VALU_DEP_1)
	v_cndmask_b32_e32 v4, v4, v5, vcc_lo
	v_cmp_gt_u32_e32 vcc_lo, 60, v3
	ds_bpermute_b32 v5, v7, v4
	v_cndmask_b32_e64 v7, 0, 4, vcc_lo
	v_cmp_lt_u32_e32 vcc_lo, v8, v6
	v_add_nc_u32_e32 v8, 4, v3
	s_delay_alu instid0(VALU_DEP_3) | instskip(SKIP_2) | instid1(VALU_DEP_1)
	v_add_lshl_u32 v7, v7, v3, 2
	s_wait_dscnt 0x0
	v_add_f32_e32 v5, v4, v5
	v_cndmask_b32_e32 v4, v4, v5, vcc_lo
	v_cmp_gt_u32_e32 vcc_lo, 56, v3
	ds_bpermute_b32 v5, v7, v4
	v_cndmask_b32_e64 v7, 0, 8, vcc_lo
	v_cmp_lt_u32_e32 vcc_lo, v8, v6
	v_add_nc_u32_e32 v8, 8, v3
	s_delay_alu instid0(VALU_DEP_3) | instskip(SKIP_2) | instid1(VALU_DEP_1)
	v_add_lshl_u32 v7, v7, v3, 2
	s_wait_dscnt 0x0
	v_add_f32_e32 v5, v4, v5
	v_cndmask_b32_e32 v4, v4, v5, vcc_lo
	v_cmp_gt_u32_e32 vcc_lo, 48, v3
	ds_bpermute_b32 v5, v7, v4
	v_cndmask_b32_e64 v7, 0, 16, vcc_lo
	v_cmp_lt_u32_e32 vcc_lo, v8, v6
	s_delay_alu instid0(VALU_DEP_2) | instskip(SKIP_2) | instid1(VALU_DEP_1)
	v_add_lshl_u32 v7, v7, v3, 2
	s_wait_dscnt 0x0
	v_add_f32_e32 v5, v4, v5
	v_cndmask_b32_e32 v5, v4, v5, vcc_lo
	ds_bpermute_b32 v4, v7, v5
	v_add_nc_u32_e32 v7, 16, v3
	s_delay_alu instid0(VALU_DEP_1) | instskip(SKIP_2) | instid1(VALU_DEP_1)
	v_cmp_lt_u32_e32 vcc_lo, v7, v6
	s_wait_dscnt 0x0
	v_dual_add_f32 v8, v5, v4 :: v_dual_lshlrev_b32 v4, 2, v3
	v_dual_cndmask_b32 v5, v5, v8, vcc_lo :: v_dual_bitop2_b32 v8, 32, v3 bitop3:0x54
	ds_bpermute_b32 v7, v4, v5 offset:128
	v_cmp_lt_u32_e32 vcc_lo, v8, v6
	s_wait_dscnt 0x0
	v_add_f32_e32 v7, v5, v7
	s_delay_alu instid0(VALU_DEP_1)
	v_cndmask_b32_e32 v5, v5, v7, vcc_lo
	v_cmpx_eq_u32_e32 0, v3
; %bb.7:
	v_lshrrev_b32_e32 v6, 4, v0
	s_delay_alu instid0(VALU_DEP_1)
	v_and_b32_e32 v6, 60, v6
	ds_store_b32 v6, v5
; %bb.8:
	s_or_b32 exec_lo, exec_lo, s3
	s_delay_alu instid0(SALU_CYCLE_1)
	s_mov_b32 s10, exec_lo
	s_wait_storecnt_dscnt 0x0
	s_barrier_signal -1
	s_barrier_wait -1
	v_cmpx_gt_u32_e32 16, v0
	s_cbranch_execz .LBB10_10
; %bb.9:
	ds_load_b32 v5, v4
	v_dual_add_nc_u32 v8, 63, v1 :: v_dual_bitop2_b32 v6, 15, v3 bitop3:0x40
	v_or_b32_e32 v4, 32, v4
	s_delay_alu instid0(VALU_DEP_2) | instskip(NEXT) | instid1(VALU_DEP_3)
	v_cmp_ne_u32_e32 vcc_lo, 15, v6
	v_dual_lshrrev_b32 v8, 6, v8 :: v_dual_add_nc_u32 v11, 2, v6
	v_cmp_gt_u32_e64 s3, 12, v6
	v_add_co_ci_u32_e64 v7, null, 0, v3, vcc_lo
	v_cmp_gt_u32_e32 vcc_lo, 14, v6
	s_delay_alu instid0(VALU_DEP_2)
	v_lshlrev_b32_e32 v7, 2, v7
	v_cndmask_b32_e64 v9, 0, 2, vcc_lo
	s_wait_dscnt 0x0
	ds_bpermute_b32 v7, v7, v5
	v_add_nc_u32_e32 v10, 1, v6
	v_add_lshl_u32 v9, v9, v3, 2
	s_wait_dscnt 0x0
	v_add_f32_e32 v7, v5, v7
	s_delay_alu instid0(VALU_DEP_3) | instskip(SKIP_2) | instid1(VALU_DEP_4)
	v_cmp_lt_u32_e32 vcc_lo, v10, v8
	v_cndmask_b32_e64 v10, 0, 4, s3
	v_cmp_lt_u32_e64 s3, v11, v8
	v_cndmask_b32_e32 v7, v5, v7, vcc_lo
	s_delay_alu instid0(VALU_DEP_3) | instskip(SKIP_3) | instid1(VALU_DEP_1)
	v_add_lshl_u32 v3, v10, v3, 2
	ds_bpermute_b32 v9, v9, v7
	s_wait_dscnt 0x0
	v_add_f32_e32 v9, v7, v9
	v_dual_cndmask_b32 v7, v7, v9, s3 :: v_dual_add_nc_u32 v9, 4, v6
	ds_bpermute_b32 v3, v3, v7
	v_cmp_lt_u32_e64 s3, v9, v8
	s_wait_dscnt 0x0
	v_add_f32_e32 v3, v7, v3
	s_delay_alu instid0(VALU_DEP_1) | instskip(SKIP_3) | instid1(VALU_DEP_1)
	v_cndmask_b32_e64 v3, v7, v3, s3
	ds_bpermute_b32 v4, v4, v3
	s_wait_dscnt 0x0
	v_dual_add_nc_u32 v6, 8, v6 :: v_dual_add_f32 v4, v3, v4
	v_cmp_lt_u32_e64 s3, v6, v8
	s_delay_alu instid0(VALU_DEP_1) | instskip(NEXT) | instid1(VALU_DEP_1)
	v_cndmask_b32_e64 v3, v3, v4, s3
	v_cndmask_b32_e32 v5, v5, v3, vcc_lo
.LBB10_10:
	s_or_b32 exec_lo, exec_lo, s10
	s_delay_alu instid0(SALU_CYCLE_1)
	s_mov_b32 s3, exec_lo
	v_cmpx_eq_u32_e32 0, v0
	s_cbranch_execz .LBB10_12
; %bb.11:
	s_cvt_f32_i32 s10, s11
	s_wait_xcnt 0x0
	s_load_b32 s0, s[0:1], 0x30
	s_delay_alu instid0(SALU_CYCLE_1) | instskip(SKIP_1) | instid1(VALU_DEP_2)
	v_div_scale_f32 v3, null, s10, s10, v5
	v_div_scale_f32 v7, vcc_lo, v5, s10, v5
	v_rcp_f32_e32 v4, v3
	v_nop
	s_delay_alu instid0(TRANS32_DEP_1) | instskip(NEXT) | instid1(VALU_DEP_1)
	v_fma_f32 v6, -v3, v4, 1.0
	v_fmac_f32_e32 v4, v6, v4
	s_delay_alu instid0(VALU_DEP_1) | instskip(NEXT) | instid1(VALU_DEP_1)
	v_mul_f32_e32 v6, v7, v4
	v_fma_f32 v8, -v3, v6, v7
	s_delay_alu instid0(VALU_DEP_1) | instskip(NEXT) | instid1(VALU_DEP_1)
	v_fmac_f32_e32 v6, v8, v4
	v_fma_f32 v3, -v3, v6, v7
	s_delay_alu instid0(VALU_DEP_1) | instskip(NEXT) | instid1(VALU_DEP_1)
	v_div_fmas_f32 v3, v3, v4, v6
	v_div_fixup_f32 v3, v3, s10, v5
	s_wait_kmcnt 0x0
	s_delay_alu instid0(VALU_DEP_1) | instskip(NEXT) | instid1(VALU_DEP_1)
	v_add_f32_e32 v3, s0, v3
	v_mul_f32_e32 v4, 0x4b800000, v3
	v_cmp_gt_f32_e32 vcc_lo, 0x800000, v3
	s_delay_alu instid0(VALU_DEP_2) | instskip(NEXT) | instid1(VALU_DEP_1)
	v_cndmask_b32_e32 v3, v3, v4, vcc_lo
	v_rsq_f32_e32 v3, v3
	v_nop
	s_delay_alu instid0(TRANS32_DEP_1) | instskip(NEXT) | instid1(VALU_DEP_1)
	v_mul_f32_e32 v4, 0x45800000, v3
	v_dual_cndmask_b32 v3, v3, v4 :: v_dual_mov_b32 v4, 0
	ds_store_b32 v4, v3 offset:64
.LBB10_12:
	s_or_b32 exec_lo, exec_lo, s3
	s_wait_dscnt 0x0
	s_barrier_signal -1
	s_barrier_wait -1
	s_wait_xcnt 0x0
	s_and_saveexec_b32 s0, s2
	s_cbranch_execz .LBB10_33
; %bb.13:
	s_wait_kmcnt 0x0
	s_load_b32 s0, s[6:7], 0x0
	v_mul_lo_u32 v9, s11, v2
	s_mov_b32 s2, 0
	s_mov_b32 s3, 0x43e00000
	s_wait_kmcnt 0x0
	v_div_scale_f32 v3, null, s0, s0, 1.0
	v_div_scale_f32 v6, vcc_lo, 1.0, s0, 1.0
	s_delay_alu instid0(VALU_DEP_2)
	v_rcp_f32_e32 v4, v3
	v_xor_b32_e32 v5, 0x80000000, v3
	s_delay_alu instid0(TRANS32_DEP_1) | instid1(VALU_DEP_1)
	v_fma_f32 v3, v5, v4, 1.0
	s_delay_alu instid0(VALU_DEP_1) | instskip(NEXT) | instid1(VALU_DEP_1)
	v_dual_fmac_f32 v4, v3, v4 :: v_dual_mov_b32 v3, 0
	v_mul_f32_e32 v7, v6, v4
	s_delay_alu instid0(VALU_DEP_1) | instskip(NEXT) | instid1(VALU_DEP_1)
	v_fma_f32 v8, v5, v7, v6
	v_fmac_f32_e32 v7, v8, v4
	ds_load_b32 v8, v3 offset:64
	v_fmac_f32_e32 v6, v5, v7
	s_delay_alu instid0(VALU_DEP_1) | instskip(NEXT) | instid1(VALU_DEP_1)
	v_div_fmas_f32 v2, v6, v4, v7
	v_div_fixup_f32 v10, v2, s0, 1.0
	s_branch .LBB10_15
.LBB10_14:                              ;   in Loop: Header=BB10_15 Depth=1
	s_or_b32 exec_lo, exec_lo, s0
	v_dual_mov_b32 v5, v3 :: v_dual_add_nc_u32 v0, v0, v1
	s_delay_alu instid0(VALU_DEP_1) | instskip(NEXT) | instid1(VALU_DEP_2)
	v_add_nc_u64_e32 v[4:5], s[8:9], v[4:5]
	v_cmp_le_i32_e32 vcc_lo, s11, v0
	s_or_b32 s2, vcc_lo, s2
	global_store_b8 v[4:5], v2, off
	s_wait_xcnt 0x0
	s_and_not1_b32 exec_lo, exec_lo, s2
	s_cbranch_execz .LBB10_33
.LBB10_15:                              ; =>This Inner Loop Header: Depth=1
	v_add_nc_u32_e32 v4, v9, v0
	global_load_u16 v2, v4, s[12:13] scale_offset
	global_load_u16 v5, v0, s[4:5] scale_offset
	s_wait_loadcnt 0x0
	v_dual_lshlrev_b32 v2, 16, v2 :: v_dual_lshlrev_b32 v5, 16, v5
	s_wait_dscnt 0x0
	s_delay_alu instid0(VALU_DEP_1) | instskip(NEXT) | instid1(VALU_DEP_1)
	v_mul_f32_e32 v2, v8, v2
	v_bfe_u32 v6, v2, 16, 1
	v_cmp_o_f32_e32 vcc_lo, v2, v2
	s_delay_alu instid0(VALU_DEP_2) | instskip(NEXT) | instid1(VALU_DEP_1)
	v_add3_u32 v6, v2, v6, 0x7fff
	v_and_b32_e32 v6, 0xffff0000, v6
	s_delay_alu instid0(VALU_DEP_1) | instskip(NEXT) | instid1(VALU_DEP_1)
	v_cndmask_b32_e32 v2, 0x7fc00000, v6, vcc_lo
	v_mul_f32_e32 v2, v2, v5
	s_delay_alu instid0(VALU_DEP_1) | instskip(SKIP_1) | instid1(VALU_DEP_2)
	v_bfe_u32 v5, v2, 16, 1
	v_cmp_o_f32_e32 vcc_lo, v2, v2
	v_add3_u32 v5, v2, v5, 0x7fff
	s_delay_alu instid0(VALU_DEP_1) | instskip(NEXT) | instid1(VALU_DEP_1)
	v_and_b32_e32 v5, 0xffff0000, v5
	v_cndmask_b32_e32 v2, 0x7fc00000, v5, vcc_lo
	s_delay_alu instid0(VALU_DEP_1) | instskip(NEXT) | instid1(VALU_DEP_1)
	v_mul_f32_e32 v2, v10, v2
	v_minmax_num_f32 v6, v2, s3, 0xc3e00000
	s_delay_alu instid0(VALU_DEP_1) | instskip(SKIP_1) | instid1(VALU_DEP_2)
	v_and_b32_e32 v2, 0x7f800000, v6
	v_lshrrev_b32_e32 v5, 24, v6
	v_cmp_ne_u64_e32 vcc_lo, 0x7f800000, v[2:3]
                                        ; implicit-def: $vgpr2
	s_wait_xcnt 0x0
	s_and_saveexec_b32 s0, vcc_lo
	s_delay_alu instid0(SALU_CYCLE_1)
	s_xor_b32 s6, exec_lo, s0
	s_cbranch_execz .LBB10_31
; %bb.16:                               ;   in Loop: Header=BB10_15 Depth=1
	v_and_b32_e32 v2, 0x7fffffff, v6
	v_and_b32_e32 v5, 0x80, v5
	s_delay_alu instid0(VALU_DEP_2) | instskip(SKIP_1) | instid1(SALU_CYCLE_1)
	v_cmp_gt_u64_e32 vcc_lo, 0x43e00001, v[2:3]
                                        ; implicit-def: $vgpr2
	s_and_saveexec_b32 s0, vcc_lo
	s_xor_b32 s7, exec_lo, s0
	s_cbranch_execz .LBB10_28
; %bb.17:                               ;   in Loop: Header=BB10_15 Depth=1
	v_mov_b32_e32 v2, 0
	s_mov_b32 s10, exec_lo
	v_cmpx_ne_u32_e32 0, v6
	s_cbranch_execz .LBB10_27
; %bb.18:                               ;   in Loop: Header=BB10_15 Depth=1
	v_bfe_u32 v11, v6, 23, 8
	v_and_b32_e32 v6, 0x7fffff, v6
	s_delay_alu instid0(VALU_DEP_2) | instskip(SKIP_2) | instid1(VALU_DEP_3)
	v_sub_nc_u32_e64 v2, 0x79, v11 clamp
	v_cmp_eq_u32_e32 vcc_lo, 0, v11
	v_add_nc_u32_e32 v11, 0xffffff88, v11
	v_cndmask_b32_e64 v16, v2, 0x78, vcc_lo
	v_or_b32_e32 v2, 0x800000, v6
	s_delay_alu instid0(VALU_DEP_1) | instskip(NEXT) | instid1(VALU_DEP_1)
	v_dual_cndmask_b32 v2, v2, v6 :: v_dual_add_nc_u32 v7, 20, v16
	v_lshlrev_b64_e64 v[6:7], v7, -1
	s_delay_alu instid0(VALU_DEP_2) | instskip(SKIP_1) | instid1(VALU_DEP_1)
	v_lshrrev_b64 v[14:15], v16, v[2:3]
	v_add_nc_u32_e32 v12, 19, v16
	v_lshlrev_b64_e64 v[12:13], v12, 1
	s_delay_alu instid0(VALU_DEP_4) | instskip(SKIP_2) | instid1(VALU_DEP_2)
	v_bfi_b32 v7, v7, 0, 0
	v_bfi_b32 v6, v6, 0, v2
	v_and_b32_e32 v2, 0x100000, v14
	v_cmp_eq_u64_e64 s0, v[6:7], v[12:13]
	s_delay_alu instid0(VALU_DEP_2) | instskip(SKIP_3) | instid1(VALU_DEP_1)
	v_cmp_eq_u64_e64 s1, 0, v[2:3]
	v_cndmask_b32_e64 v2, v11, 0xffffff89, vcc_lo
	v_lshrrev_b32_e32 v6, 23, v14
                                        ; implicit-def: $vgpr11
	s_and_b32 vcc_lo, s1, s0
	v_add3_u32 v12, v2, v16, v6
	v_subrev_co_ci_u32_e64 v7, null, 0, v14, vcc_lo
	s_mov_b32 s0, exec_lo
	v_and_b32_e32 v2, 0xfffff, v7
	v_add_nc_u32_e32 v13, -1, v12
                                        ; implicit-def: $vgpr6_vgpr7
	s_delay_alu instid0(VALU_DEP_2) | instskip(NEXT) | instid1(VALU_DEP_2)
	v_add_nc_u32_e32 v2, v2, v14
	v_cmpx_ne_u32_e32 0, v13
	s_xor_b32 s0, exec_lo, s0
	s_cbranch_execz .LBB10_20
; %bb.19:                               ;   in Loop: Header=BB10_15 Depth=1
	s_delay_alu instid0(VALU_DEP_2) | instskip(SKIP_2) | instid1(VALU_DEP_2)
	v_and_b32_e32 v14, 0x1000000, v2
	v_mov_b32_e32 v15, v3
	v_bfe_u32 v6, v2, 24, 1
	v_cmp_eq_u64_e32 vcc_lo, 0, v[14:15]
	s_delay_alu instid0(VALU_DEP_2)
	v_lshrrev_b64 v[6:7], v6, v[2:3]
	v_cndmask_b32_e32 v11, v12, v13, vcc_lo
.LBB10_20:                              ;   in Loop: Header=BB10_15 Depth=1
	s_and_not1_saveexec_b32 s0, s0
; %bb.21:                               ;   in Loop: Header=BB10_15 Depth=1
	v_mov_b64_e32 v[6:7], v[2:3]
	v_bfe_u32 v11, v2, 23, 1
; %bb.22:                               ;   in Loop: Header=BB10_15 Depth=1
	s_or_b32 exec_lo, exec_lo, s0
	s_delay_alu instid0(VALU_DEP_2) | instskip(NEXT) | instid1(VALU_DEP_2)
	v_lshrrev_b64 v[6:7], 20, v[6:7]
	v_cmp_gt_i32_e32 vcc_lo, 16, v11
	v_cmp_ne_u32_e64 s0, 0, v11
                                        ; implicit-def: $vgpr2
	s_delay_alu instid0(VALU_DEP_3) | instskip(NEXT) | instid1(VALU_DEP_1)
	v_dual_cndmask_b32 v7, 0, v7 :: v_dual_cndmask_b32 v6, 7, v6
	v_cmp_ne_u64_e32 vcc_lo, 0, v[6:7]
	s_or_b32 s0, s0, vcc_lo
	s_delay_alu instid0(SALU_CYCLE_1) | instskip(NEXT) | instid1(SALU_CYCLE_1)
	s_and_saveexec_b32 s1, s0
	s_xor_b32 s0, exec_lo, s1
; %bb.23:                               ;   in Loop: Header=BB10_15 Depth=1
	v_min_i32_e32 v2, 15, v11
	s_delay_alu instid0(VALU_DEP_1) | instskip(NEXT) | instid1(VALU_DEP_1)
	v_lshl_or_b32 v2, v2, 3, v5
                                        ; implicit-def: $vgpr5
	v_and_or_b32 v2, v6, 7, v2
; %bb.24:                               ;   in Loop: Header=BB10_15 Depth=1
	s_and_not1_saveexec_b32 s0, s0
; %bb.25:                               ;   in Loop: Header=BB10_15 Depth=1
	v_mov_b32_e32 v2, v5
; %bb.26:                               ;   in Loop: Header=BB10_15 Depth=1
	s_or_b32 exec_lo, exec_lo, s0
.LBB10_27:                              ;   in Loop: Header=BB10_15 Depth=1
	s_delay_alu instid0(SALU_CYCLE_1)
	s_or_b32 exec_lo, exec_lo, s10
                                        ; implicit-def: $vgpr5
.LBB10_28:                              ;   in Loop: Header=BB10_15 Depth=1
	s_and_not1_saveexec_b32 s0, s7
; %bb.29:                               ;   in Loop: Header=BB10_15 Depth=1
	v_or_b32_e32 v2, 0x7e, v5
; %bb.30:                               ;   in Loop: Header=BB10_15 Depth=1
	s_or_b32 exec_lo, exec_lo, s0
                                        ; implicit-def: $vgpr5
.LBB10_31:                              ;   in Loop: Header=BB10_15 Depth=1
	s_and_not1_saveexec_b32 s0, s6
	s_cbranch_execz .LBB10_14
; %bb.32:                               ;   in Loop: Header=BB10_15 Depth=1
	v_or_b32_e32 v2, 0x7f, v5
	s_branch .LBB10_14
.LBB10_33:
	s_endpgm
	.section	.rodata,"a",@progbits
	.p2align	6, 0x0
	.amdhsa_kernel _ZN4vllm42fused_add_rms_norm_static_fp8_quant_kernelIN3c108BFloat16ELi8ENS1_13Float8_e4m3fnEEENSt9enable_ifIXooeqT0_Li0Entsr12_typeConvertIT_EE6existsEvE4typeEPT1_PS5_iSA_PKS5_PKffii
		.amdhsa_group_segment_fixed_size 68
		.amdhsa_private_segment_fixed_size 0
		.amdhsa_kernarg_size 320
		.amdhsa_user_sgpr_count 2
		.amdhsa_user_sgpr_dispatch_ptr 0
		.amdhsa_user_sgpr_queue_ptr 0
		.amdhsa_user_sgpr_kernarg_segment_ptr 1
		.amdhsa_user_sgpr_dispatch_id 0
		.amdhsa_user_sgpr_kernarg_preload_length 0
		.amdhsa_user_sgpr_kernarg_preload_offset 0
		.amdhsa_user_sgpr_private_segment_size 0
		.amdhsa_wavefront_size32 1
		.amdhsa_uses_dynamic_stack 0
		.amdhsa_enable_private_segment 0
		.amdhsa_system_sgpr_workgroup_id_x 1
		.amdhsa_system_sgpr_workgroup_id_y 0
		.amdhsa_system_sgpr_workgroup_id_z 0
		.amdhsa_system_sgpr_workgroup_info 0
		.amdhsa_system_vgpr_workitem_id 0
		.amdhsa_next_free_vgpr 17
		.amdhsa_next_free_sgpr 19
		.amdhsa_named_barrier_count 0
		.amdhsa_reserve_vcc 1
		.amdhsa_float_round_mode_32 0
		.amdhsa_float_round_mode_16_64 0
		.amdhsa_float_denorm_mode_32 3
		.amdhsa_float_denorm_mode_16_64 3
		.amdhsa_fp16_overflow 0
		.amdhsa_memory_ordered 1
		.amdhsa_forward_progress 1
		.amdhsa_inst_pref_size 18
		.amdhsa_round_robin_scheduling 0
		.amdhsa_exception_fp_ieee_invalid_op 0
		.amdhsa_exception_fp_denorm_src 0
		.amdhsa_exception_fp_ieee_div_zero 0
		.amdhsa_exception_fp_ieee_overflow 0
		.amdhsa_exception_fp_ieee_underflow 0
		.amdhsa_exception_fp_ieee_inexact 0
		.amdhsa_exception_int_div_zero 0
	.end_amdhsa_kernel
	.section	.text._ZN4vllm42fused_add_rms_norm_static_fp8_quant_kernelIN3c108BFloat16ELi8ENS1_13Float8_e4m3fnEEENSt9enable_ifIXooeqT0_Li0Entsr12_typeConvertIT_EE6existsEvE4typeEPT1_PS5_iSA_PKS5_PKffii,"axG",@progbits,_ZN4vllm42fused_add_rms_norm_static_fp8_quant_kernelIN3c108BFloat16ELi8ENS1_13Float8_e4m3fnEEENSt9enable_ifIXooeqT0_Li0Entsr12_typeConvertIT_EE6existsEvE4typeEPT1_PS5_iSA_PKS5_PKffii,comdat
.Lfunc_end10:
	.size	_ZN4vllm42fused_add_rms_norm_static_fp8_quant_kernelIN3c108BFloat16ELi8ENS1_13Float8_e4m3fnEEENSt9enable_ifIXooeqT0_Li0Entsr12_typeConvertIT_EE6existsEvE4typeEPT1_PS5_iSA_PKS5_PKffii, .Lfunc_end10-_ZN4vllm42fused_add_rms_norm_static_fp8_quant_kernelIN3c108BFloat16ELi8ENS1_13Float8_e4m3fnEEENSt9enable_ifIXooeqT0_Li0Entsr12_typeConvertIT_EE6existsEvE4typeEPT1_PS5_iSA_PKS5_PKffii
                                        ; -- End function
	.set _ZN4vllm42fused_add_rms_norm_static_fp8_quant_kernelIN3c108BFloat16ELi8ENS1_13Float8_e4m3fnEEENSt9enable_ifIXooeqT0_Li0Entsr12_typeConvertIT_EE6existsEvE4typeEPT1_PS5_iSA_PKS5_PKffii.num_vgpr, 17
	.set _ZN4vllm42fused_add_rms_norm_static_fp8_quant_kernelIN3c108BFloat16ELi8ENS1_13Float8_e4m3fnEEENSt9enable_ifIXooeqT0_Li0Entsr12_typeConvertIT_EE6existsEvE4typeEPT1_PS5_iSA_PKS5_PKffii.num_agpr, 0
	.set _ZN4vllm42fused_add_rms_norm_static_fp8_quant_kernelIN3c108BFloat16ELi8ENS1_13Float8_e4m3fnEEENSt9enable_ifIXooeqT0_Li0Entsr12_typeConvertIT_EE6existsEvE4typeEPT1_PS5_iSA_PKS5_PKffii.numbered_sgpr, 19
	.set _ZN4vllm42fused_add_rms_norm_static_fp8_quant_kernelIN3c108BFloat16ELi8ENS1_13Float8_e4m3fnEEENSt9enable_ifIXooeqT0_Li0Entsr12_typeConvertIT_EE6existsEvE4typeEPT1_PS5_iSA_PKS5_PKffii.num_named_barrier, 0
	.set _ZN4vllm42fused_add_rms_norm_static_fp8_quant_kernelIN3c108BFloat16ELi8ENS1_13Float8_e4m3fnEEENSt9enable_ifIXooeqT0_Li0Entsr12_typeConvertIT_EE6existsEvE4typeEPT1_PS5_iSA_PKS5_PKffii.private_seg_size, 0
	.set _ZN4vllm42fused_add_rms_norm_static_fp8_quant_kernelIN3c108BFloat16ELi8ENS1_13Float8_e4m3fnEEENSt9enable_ifIXooeqT0_Li0Entsr12_typeConvertIT_EE6existsEvE4typeEPT1_PS5_iSA_PKS5_PKffii.uses_vcc, 1
	.set _ZN4vllm42fused_add_rms_norm_static_fp8_quant_kernelIN3c108BFloat16ELi8ENS1_13Float8_e4m3fnEEENSt9enable_ifIXooeqT0_Li0Entsr12_typeConvertIT_EE6existsEvE4typeEPT1_PS5_iSA_PKS5_PKffii.uses_flat_scratch, 0
	.set _ZN4vllm42fused_add_rms_norm_static_fp8_quant_kernelIN3c108BFloat16ELi8ENS1_13Float8_e4m3fnEEENSt9enable_ifIXooeqT0_Li0Entsr12_typeConvertIT_EE6existsEvE4typeEPT1_PS5_iSA_PKS5_PKffii.has_dyn_sized_stack, 0
	.set _ZN4vllm42fused_add_rms_norm_static_fp8_quant_kernelIN3c108BFloat16ELi8ENS1_13Float8_e4m3fnEEENSt9enable_ifIXooeqT0_Li0Entsr12_typeConvertIT_EE6existsEvE4typeEPT1_PS5_iSA_PKS5_PKffii.has_recursion, 0
	.set _ZN4vllm42fused_add_rms_norm_static_fp8_quant_kernelIN3c108BFloat16ELi8ENS1_13Float8_e4m3fnEEENSt9enable_ifIXooeqT0_Li0Entsr12_typeConvertIT_EE6existsEvE4typeEPT1_PS5_iSA_PKS5_PKffii.has_indirect_call, 0
	.section	.AMDGPU.csdata,"",@progbits
; Kernel info:
; codeLenInByte = 2216
; TotalNumSgprs: 21
; NumVgprs: 17
; ScratchSize: 0
; MemoryBound: 0
; FloatMode: 240
; IeeeMode: 1
; LDSByteSize: 68 bytes/workgroup (compile time only)
; SGPRBlocks: 0
; VGPRBlocks: 1
; NumSGPRsForWavesPerEU: 21
; NumVGPRsForWavesPerEU: 17
; NamedBarCnt: 0
; Occupancy: 16
; WaveLimiterHint : 0
; COMPUTE_PGM_RSRC2:SCRATCH_EN: 0
; COMPUTE_PGM_RSRC2:USER_SGPR: 2
; COMPUTE_PGM_RSRC2:TRAP_HANDLER: 0
; COMPUTE_PGM_RSRC2:TGID_X_EN: 1
; COMPUTE_PGM_RSRC2:TGID_Y_EN: 0
; COMPUTE_PGM_RSRC2:TGID_Z_EN: 0
; COMPUTE_PGM_RSRC2:TIDIG_COMP_CNT: 0
	.section	.text._ZN4vllm42fused_add_rms_norm_static_fp8_quant_kernelIN3c108BFloat16ELi8ENS1_15Float8_e4m3fnuzEEENSt9enable_ifIXooeqT0_Li0Entsr12_typeConvertIT_EE6existsEvE4typeEPT1_PS5_iSA_PKS5_PKffii,"axG",@progbits,_ZN4vllm42fused_add_rms_norm_static_fp8_quant_kernelIN3c108BFloat16ELi8ENS1_15Float8_e4m3fnuzEEENSt9enable_ifIXooeqT0_Li0Entsr12_typeConvertIT_EE6existsEvE4typeEPT1_PS5_iSA_PKS5_PKffii,comdat
	.protected	_ZN4vllm42fused_add_rms_norm_static_fp8_quant_kernelIN3c108BFloat16ELi8ENS1_15Float8_e4m3fnuzEEENSt9enable_ifIXooeqT0_Li0Entsr12_typeConvertIT_EE6existsEvE4typeEPT1_PS5_iSA_PKS5_PKffii ; -- Begin function _ZN4vllm42fused_add_rms_norm_static_fp8_quant_kernelIN3c108BFloat16ELi8ENS1_15Float8_e4m3fnuzEEENSt9enable_ifIXooeqT0_Li0Entsr12_typeConvertIT_EE6existsEvE4typeEPT1_PS5_iSA_PKS5_PKffii
	.globl	_ZN4vllm42fused_add_rms_norm_static_fp8_quant_kernelIN3c108BFloat16ELi8ENS1_15Float8_e4m3fnuzEEENSt9enable_ifIXooeqT0_Li0Entsr12_typeConvertIT_EE6existsEvE4typeEPT1_PS5_iSA_PKS5_PKffii
	.p2align	8
	.type	_ZN4vllm42fused_add_rms_norm_static_fp8_quant_kernelIN3c108BFloat16ELi8ENS1_15Float8_e4m3fnuzEEENSt9enable_ifIXooeqT0_Li0Entsr12_typeConvertIT_EE6existsEvE4typeEPT1_PS5_iSA_PKS5_PKffii,@function
_ZN4vllm42fused_add_rms_norm_static_fp8_quant_kernelIN3c108BFloat16ELi8ENS1_15Float8_e4m3fnuzEEENSt9enable_ifIXooeqT0_Li0Entsr12_typeConvertIT_EE6existsEvE4typeEPT1_PS5_iSA_PKS5_PKffii: ; @_ZN4vllm42fused_add_rms_norm_static_fp8_quant_kernelIN3c108BFloat16ELi8ENS1_15Float8_e4m3fnuzEEENSt9enable_ifIXooeqT0_Li0Entsr12_typeConvertIT_EE6existsEvE4typeEPT1_PS5_iSA_PKS5_PKffii
; %bb.0:
	s_clause 0x1
	s_load_b32 s11, s[0:1], 0x38
	s_load_b64 s[12:13], s[0:1], 0x18
	s_getreg_b32 s14, hwreg(HW_REG_IB_STS2, 6, 4)
	s_mov_b32 s3, exec_lo
                                        ; implicit-def: $sgpr8
                                        ; implicit-def: $sgpr9
	s_wait_kmcnt 0x0
	v_cmp_gt_i32_e64 s2, s11, v0
	v_cmpx_le_i32_e64 s11, v0
	s_xor_b32 s3, exec_lo, s3
	s_cbranch_execz .LBB11_2
; %bb.1:
	s_load_b32 s4, s[0:1], 0x4c
	s_bfe_u32 s5, ttmp6, 0x4000c
	s_and_b32 s6, ttmp6, 15
	s_add_co_i32 s5, s5, 1
	s_delay_alu instid0(SALU_CYCLE_1) | instskip(NEXT) | instid1(SALU_CYCLE_1)
	s_mul_i32 s5, ttmp9, s5
	s_add_co_i32 s6, s6, s5
	s_cmp_eq_u32 s14, 0
	s_cselect_b32 s8, ttmp9, s6
	s_wait_kmcnt 0x0
	s_and_b32 s9, s4, 0xffff
.LBB11_2:
	s_or_saveexec_b32 s3, s3
	s_load_b128 s[4:7], s[0:1], 0x20
	v_dual_mov_b32 v4, 0 :: v_dual_mov_b32 v2, s8
	v_mov_b32_e32 v1, s9
	s_xor_b32 exec_lo, exec_lo, s3
	s_cbranch_execz .LBB11_6
; %bb.3:
	s_clause 0x1
	s_load_b96 s[8:10], s[0:1], 0x8
	s_load_b32 s18, s[0:1], 0x4c
	s_bfe_u32 s15, ttmp6, 0x4000c
	s_and_b32 s16, ttmp6, 15
	s_add_co_i32 s15, s15, 1
	v_dual_mov_b32 v4, 0 :: v_dual_mov_b32 v1, v0
	s_mul_i32 s17, ttmp9, s15
	s_mov_b32 s15, 0
	s_add_co_i32 s16, s16, s17
	s_cmp_eq_u32 s14, 0
	s_cselect_b32 s14, ttmp9, s16
	s_delay_alu instid0(SALU_CYCLE_1)
	s_mul_i32 s16, s11, s14
	s_wait_kmcnt 0x0
	s_mul_i32 s17, s10, s14
	s_and_b32 s10, s18, 0xffff
.LBB11_4:                               ; =>This Inner Loop Header: Depth=1
	v_dual_add_nc_u32 v2, s17, v1 :: v_dual_add_nc_u32 v3, s16, v1
	global_load_u16 v5, v2, s[8:9] scale_offset
	global_load_u16 v6, v3, s[12:13] scale_offset
	s_wait_loadcnt 0x0
	s_wait_xcnt 0x1
	v_dual_lshlrev_b32 v2, 16, v5 :: v_dual_lshlrev_b32 v5, 16, v6
	s_delay_alu instid0(VALU_DEP_1) | instskip(NEXT) | instid1(VALU_DEP_1)
	v_add_f32_e32 v2, v5, v2
	v_bfe_u32 v5, v2, 16, 1
	s_delay_alu instid0(VALU_DEP_1) | instskip(NEXT) | instid1(VALU_DEP_1)
	v_add3_u32 v5, v2, v5, 0x7fff
	v_lshrrev_b32_e32 v5, 16, v5
	v_cmp_o_f32_e32 vcc_lo, v2, v2
	s_delay_alu instid0(VALU_DEP_2) | instskip(NEXT) | instid1(VALU_DEP_1)
	v_cndmask_b32_e32 v2, 0x7fc0, v5, vcc_lo
	v_dual_add_nc_u32 v1, s10, v1 :: v_dual_lshlrev_b32 v5, 16, v2
	s_delay_alu instid0(VALU_DEP_1)
	v_cmp_le_i32_e32 vcc_lo, s11, v1
	global_store_b16 v3, v2, s[12:13] scale_offset
	v_fmac_f32_e32 v4, v5, v5
	s_or_b32 s15, vcc_lo, s15
	s_wait_xcnt 0x0
	s_and_not1_b32 exec_lo, exec_lo, s15
	s_cbranch_execnz .LBB11_4
; %bb.5:
	s_or_b32 exec_lo, exec_lo, s15
	v_dual_mov_b32 v2, s14 :: v_dual_mov_b32 v1, s10
.LBB11_6:
	s_or_b32 exec_lo, exec_lo, s3
	v_mbcnt_lo_u32_b32 v3, -1, 0
	v_and_b32_e32 v6, 0x3c0, v0
	s_load_b64 s[8:9], s[0:1], 0x0
	s_mov_b32 s3, exec_lo
	s_delay_alu instid0(VALU_DEP_2) | instskip(NEXT) | instid1(VALU_DEP_2)
	v_cmp_ne_u32_e32 vcc_lo, 63, v3
	v_sub_nc_u32_e64 v6, v1, v6 clamp
	v_add_nc_u32_e32 v8, 1, v3
	v_add_co_ci_u32_e64 v5, null, 0, v3, vcc_lo
	v_cmp_gt_u32_e32 vcc_lo, 62, v3
	s_delay_alu instid0(VALU_DEP_2)
	v_lshlrev_b32_e32 v5, 2, v5
	v_cndmask_b32_e64 v7, 0, 2, vcc_lo
	v_cmp_lt_u32_e32 vcc_lo, v8, v6
	v_add_nc_u32_e32 v8, 2, v3
	ds_bpermute_b32 v5, v5, v4
	v_add_lshl_u32 v7, v7, v3, 2
	s_wait_dscnt 0x0
	v_add_f32_e32 v5, v4, v5
	s_delay_alu instid0(VALU_DEP_1)
	v_cndmask_b32_e32 v4, v4, v5, vcc_lo
	v_cmp_gt_u32_e32 vcc_lo, 60, v3
	ds_bpermute_b32 v5, v7, v4
	v_cndmask_b32_e64 v7, 0, 4, vcc_lo
	v_cmp_lt_u32_e32 vcc_lo, v8, v6
	v_add_nc_u32_e32 v8, 4, v3
	s_delay_alu instid0(VALU_DEP_3) | instskip(SKIP_2) | instid1(VALU_DEP_1)
	v_add_lshl_u32 v7, v7, v3, 2
	s_wait_dscnt 0x0
	v_add_f32_e32 v5, v4, v5
	v_cndmask_b32_e32 v4, v4, v5, vcc_lo
	v_cmp_gt_u32_e32 vcc_lo, 56, v3
	ds_bpermute_b32 v5, v7, v4
	v_cndmask_b32_e64 v7, 0, 8, vcc_lo
	v_cmp_lt_u32_e32 vcc_lo, v8, v6
	v_add_nc_u32_e32 v8, 8, v3
	s_delay_alu instid0(VALU_DEP_3) | instskip(SKIP_2) | instid1(VALU_DEP_1)
	v_add_lshl_u32 v7, v7, v3, 2
	s_wait_dscnt 0x0
	v_add_f32_e32 v5, v4, v5
	v_cndmask_b32_e32 v4, v4, v5, vcc_lo
	v_cmp_gt_u32_e32 vcc_lo, 48, v3
	ds_bpermute_b32 v5, v7, v4
	v_cndmask_b32_e64 v7, 0, 16, vcc_lo
	v_cmp_lt_u32_e32 vcc_lo, v8, v6
	s_delay_alu instid0(VALU_DEP_2) | instskip(SKIP_2) | instid1(VALU_DEP_1)
	v_add_lshl_u32 v7, v7, v3, 2
	s_wait_dscnt 0x0
	v_add_f32_e32 v5, v4, v5
	v_cndmask_b32_e32 v5, v4, v5, vcc_lo
	ds_bpermute_b32 v4, v7, v5
	v_add_nc_u32_e32 v7, 16, v3
	s_delay_alu instid0(VALU_DEP_1) | instskip(SKIP_2) | instid1(VALU_DEP_1)
	v_cmp_lt_u32_e32 vcc_lo, v7, v6
	s_wait_dscnt 0x0
	v_dual_add_f32 v8, v5, v4 :: v_dual_lshlrev_b32 v4, 2, v3
	v_dual_cndmask_b32 v5, v5, v8, vcc_lo :: v_dual_bitop2_b32 v8, 32, v3 bitop3:0x54
	ds_bpermute_b32 v7, v4, v5 offset:128
	v_cmp_lt_u32_e32 vcc_lo, v8, v6
	s_wait_dscnt 0x0
	v_add_f32_e32 v7, v5, v7
	s_delay_alu instid0(VALU_DEP_1)
	v_cndmask_b32_e32 v5, v5, v7, vcc_lo
	v_cmpx_eq_u32_e32 0, v3
; %bb.7:
	v_lshrrev_b32_e32 v6, 4, v0
	s_delay_alu instid0(VALU_DEP_1)
	v_and_b32_e32 v6, 60, v6
	ds_store_b32 v6, v5
; %bb.8:
	s_or_b32 exec_lo, exec_lo, s3
	s_delay_alu instid0(SALU_CYCLE_1)
	s_mov_b32 s10, exec_lo
	s_wait_storecnt_dscnt 0x0
	s_barrier_signal -1
	s_barrier_wait -1
	v_cmpx_gt_u32_e32 16, v0
	s_cbranch_execz .LBB11_10
; %bb.9:
	ds_load_b32 v5, v4
	v_dual_add_nc_u32 v8, 63, v1 :: v_dual_bitop2_b32 v6, 15, v3 bitop3:0x40
	v_or_b32_e32 v4, 32, v4
	s_delay_alu instid0(VALU_DEP_2) | instskip(NEXT) | instid1(VALU_DEP_3)
	v_cmp_ne_u32_e32 vcc_lo, 15, v6
	v_dual_lshrrev_b32 v8, 6, v8 :: v_dual_add_nc_u32 v11, 2, v6
	v_cmp_gt_u32_e64 s3, 12, v6
	v_add_co_ci_u32_e64 v7, null, 0, v3, vcc_lo
	v_cmp_gt_u32_e32 vcc_lo, 14, v6
	s_delay_alu instid0(VALU_DEP_2)
	v_lshlrev_b32_e32 v7, 2, v7
	v_cndmask_b32_e64 v9, 0, 2, vcc_lo
	s_wait_dscnt 0x0
	ds_bpermute_b32 v7, v7, v5
	v_add_nc_u32_e32 v10, 1, v6
	v_add_lshl_u32 v9, v9, v3, 2
	s_wait_dscnt 0x0
	v_add_f32_e32 v7, v5, v7
	s_delay_alu instid0(VALU_DEP_3) | instskip(SKIP_2) | instid1(VALU_DEP_4)
	v_cmp_lt_u32_e32 vcc_lo, v10, v8
	v_cndmask_b32_e64 v10, 0, 4, s3
	v_cmp_lt_u32_e64 s3, v11, v8
	v_cndmask_b32_e32 v7, v5, v7, vcc_lo
	s_delay_alu instid0(VALU_DEP_3) | instskip(SKIP_3) | instid1(VALU_DEP_1)
	v_add_lshl_u32 v3, v10, v3, 2
	ds_bpermute_b32 v9, v9, v7
	s_wait_dscnt 0x0
	v_add_f32_e32 v9, v7, v9
	v_dual_cndmask_b32 v7, v7, v9, s3 :: v_dual_add_nc_u32 v9, 4, v6
	ds_bpermute_b32 v3, v3, v7
	v_cmp_lt_u32_e64 s3, v9, v8
	s_wait_dscnt 0x0
	v_add_f32_e32 v3, v7, v3
	s_delay_alu instid0(VALU_DEP_1) | instskip(SKIP_3) | instid1(VALU_DEP_1)
	v_cndmask_b32_e64 v3, v7, v3, s3
	ds_bpermute_b32 v4, v4, v3
	s_wait_dscnt 0x0
	v_dual_add_nc_u32 v6, 8, v6 :: v_dual_add_f32 v4, v3, v4
	v_cmp_lt_u32_e64 s3, v6, v8
	s_delay_alu instid0(VALU_DEP_1) | instskip(NEXT) | instid1(VALU_DEP_1)
	v_cndmask_b32_e64 v3, v3, v4, s3
	v_cndmask_b32_e32 v5, v5, v3, vcc_lo
.LBB11_10:
	s_or_b32 exec_lo, exec_lo, s10
	s_delay_alu instid0(SALU_CYCLE_1)
	s_mov_b32 s3, exec_lo
	v_cmpx_eq_u32_e32 0, v0
	s_cbranch_execz .LBB11_12
; %bb.11:
	s_cvt_f32_i32 s10, s11
	s_wait_xcnt 0x0
	s_load_b32 s0, s[0:1], 0x30
	s_delay_alu instid0(SALU_CYCLE_1) | instskip(SKIP_1) | instid1(VALU_DEP_2)
	v_div_scale_f32 v3, null, s10, s10, v5
	v_div_scale_f32 v7, vcc_lo, v5, s10, v5
	v_rcp_f32_e32 v4, v3
	v_nop
	s_delay_alu instid0(TRANS32_DEP_1) | instskip(NEXT) | instid1(VALU_DEP_1)
	v_fma_f32 v6, -v3, v4, 1.0
	v_fmac_f32_e32 v4, v6, v4
	s_delay_alu instid0(VALU_DEP_1) | instskip(NEXT) | instid1(VALU_DEP_1)
	v_mul_f32_e32 v6, v7, v4
	v_fma_f32 v8, -v3, v6, v7
	s_delay_alu instid0(VALU_DEP_1) | instskip(NEXT) | instid1(VALU_DEP_1)
	v_fmac_f32_e32 v6, v8, v4
	v_fma_f32 v3, -v3, v6, v7
	s_delay_alu instid0(VALU_DEP_1) | instskip(NEXT) | instid1(VALU_DEP_1)
	v_div_fmas_f32 v3, v3, v4, v6
	v_div_fixup_f32 v3, v3, s10, v5
	s_wait_kmcnt 0x0
	s_delay_alu instid0(VALU_DEP_1) | instskip(NEXT) | instid1(VALU_DEP_1)
	v_add_f32_e32 v3, s0, v3
	v_mul_f32_e32 v4, 0x4b800000, v3
	v_cmp_gt_f32_e32 vcc_lo, 0x800000, v3
	s_delay_alu instid0(VALU_DEP_2) | instskip(NEXT) | instid1(VALU_DEP_1)
	v_cndmask_b32_e32 v3, v3, v4, vcc_lo
	v_rsq_f32_e32 v3, v3
	v_nop
	s_delay_alu instid0(TRANS32_DEP_1) | instskip(NEXT) | instid1(VALU_DEP_1)
	v_mul_f32_e32 v4, 0x45800000, v3
	v_dual_cndmask_b32 v3, v3, v4 :: v_dual_mov_b32 v4, 0
	ds_store_b32 v4, v3 offset:64
.LBB11_12:
	s_or_b32 exec_lo, exec_lo, s3
	s_wait_dscnt 0x0
	s_barrier_signal -1
	s_barrier_wait -1
	s_wait_xcnt 0x0
	s_and_saveexec_b32 s0, s2
	s_cbranch_execz .LBB11_27
; %bb.13:
	s_wait_kmcnt 0x0
	s_load_b32 s0, s[6:7], 0x0
	v_mul_lo_u32 v9, s11, v2
	s_mov_b32 s2, 0
	s_mov_b32 s3, 0x43600000
	s_wait_kmcnt 0x0
	v_div_scale_f32 v3, null, s0, s0, 1.0
	v_div_scale_f32 v6, vcc_lo, 1.0, s0, 1.0
	s_delay_alu instid0(VALU_DEP_2)
	v_rcp_f32_e32 v4, v3
	v_xor_b32_e32 v5, 0x80000000, v3
	s_delay_alu instid0(TRANS32_DEP_1) | instid1(VALU_DEP_1)
	v_fma_f32 v3, v5, v4, 1.0
	s_delay_alu instid0(VALU_DEP_1) | instskip(NEXT) | instid1(VALU_DEP_1)
	v_dual_fmac_f32 v4, v3, v4 :: v_dual_mov_b32 v3, 0
	v_mul_f32_e32 v7, v6, v4
	s_delay_alu instid0(VALU_DEP_1) | instskip(NEXT) | instid1(VALU_DEP_1)
	v_fma_f32 v8, v5, v7, v6
	v_fmac_f32_e32 v7, v8, v4
	ds_load_b32 v8, v3 offset:64
	v_fmac_f32_e32 v6, v5, v7
	s_delay_alu instid0(VALU_DEP_1) | instskip(NEXT) | instid1(VALU_DEP_1)
	v_div_fmas_f32 v2, v6, v4, v7
	v_div_fixup_f32 v10, v2, s0, 1.0
	s_branch .LBB11_16
.LBB11_14:                              ;   in Loop: Header=BB11_16 Depth=1
	s_or_b32 exec_lo, exec_lo, s0
.LBB11_15:                              ;   in Loop: Header=BB11_16 Depth=1
	s_delay_alu instid0(SALU_CYCLE_1) | instskip(SKIP_1) | instid1(VALU_DEP_1)
	s_or_b32 exec_lo, exec_lo, s6
	v_dual_mov_b32 v5, v3 :: v_dual_add_nc_u32 v0, v0, v1
	v_add_nc_u64_e32 v[4:5], s[8:9], v[4:5]
	s_delay_alu instid0(VALU_DEP_2)
	v_cmp_le_i32_e32 vcc_lo, s11, v0
	s_or_b32 s2, vcc_lo, s2
	global_store_b8 v[4:5], v2, off
	s_wait_xcnt 0x0
	s_and_not1_b32 exec_lo, exec_lo, s2
	s_cbranch_execz .LBB11_27
.LBB11_16:                              ; =>This Inner Loop Header: Depth=1
	v_add_nc_u32_e32 v4, v9, v0
	global_load_u16 v2, v4, s[12:13] scale_offset
	global_load_u16 v5, v0, s[4:5] scale_offset
	s_wait_loadcnt 0x0
	v_dual_lshlrev_b32 v2, 16, v2 :: v_dual_lshlrev_b32 v5, 16, v5
	s_wait_dscnt 0x0
	s_delay_alu instid0(VALU_DEP_1) | instskip(NEXT) | instid1(VALU_DEP_1)
	v_mul_f32_e32 v2, v8, v2
	v_bfe_u32 v6, v2, 16, 1
	v_cmp_o_f32_e32 vcc_lo, v2, v2
	s_delay_alu instid0(VALU_DEP_2) | instskip(NEXT) | instid1(VALU_DEP_1)
	v_add3_u32 v6, v2, v6, 0x7fff
	v_and_b32_e32 v6, 0xffff0000, v6
	s_delay_alu instid0(VALU_DEP_1) | instskip(NEXT) | instid1(VALU_DEP_1)
	v_cndmask_b32_e32 v2, 0x7fc00000, v6, vcc_lo
	v_mul_f32_e32 v2, v2, v5
	s_delay_alu instid0(VALU_DEP_1) | instskip(SKIP_1) | instid1(VALU_DEP_2)
	v_bfe_u32 v5, v2, 16, 1
	v_cmp_o_f32_e32 vcc_lo, v2, v2
	v_add3_u32 v5, v2, v5, 0x7fff
	s_delay_alu instid0(VALU_DEP_1) | instskip(NEXT) | instid1(VALU_DEP_1)
	v_and_b32_e32 v5, 0xffff0000, v5
	v_cndmask_b32_e32 v2, 0x7fc00000, v5, vcc_lo
	s_delay_alu instid0(VALU_DEP_1) | instskip(NEXT) | instid1(VALU_DEP_1)
	v_mul_f32_e32 v2, v10, v2
	v_minmax_num_f32 v5, v2, s3, 0xc3600000
	s_delay_alu instid0(VALU_DEP_1) | instskip(NEXT) | instid1(VALU_DEP_1)
	v_and_b32_e32 v2, 0x7f800000, v5
	v_cmp_ne_u64_e32 vcc_lo, 0x7f800000, v[2:3]
	v_mov_b32_e32 v2, 0x80
	s_wait_xcnt 0x0
	s_and_saveexec_b32 s6, vcc_lo
	s_cbranch_execz .LBB11_15
; %bb.17:                               ;   in Loop: Header=BB11_16 Depth=1
	v_and_b32_e32 v2, 0x7fffffff, v5
	s_delay_alu instid0(VALU_DEP_1) | instskip(SKIP_1) | instid1(SALU_CYCLE_1)
	v_cmp_gt_u64_e32 vcc_lo, 0x43700001, v[2:3]
                                        ; implicit-def: $vgpr2
	s_and_saveexec_b32 s0, vcc_lo
	s_xor_b32 s7, exec_lo, s0
	s_cbranch_execz .LBB11_25
; %bb.18:                               ;   in Loop: Header=BB11_16 Depth=1
	v_mov_b32_e32 v2, 0
	s_mov_b32 s10, exec_lo
	v_cmpx_ne_u32_e32 0, v5
	s_cbranch_execz .LBB11_24
; %bb.19:                               ;   in Loop: Header=BB11_16 Depth=1
	v_bfe_u32 v11, v5, 23, 8
	v_and_b32_e32 v6, 0x7fffff, v5
	s_delay_alu instid0(VALU_DEP_2) | instskip(SKIP_2) | instid1(VALU_DEP_3)
	v_sub_nc_u32_e64 v2, 0x78, v11 clamp
	v_cmp_eq_u32_e32 vcc_lo, 0, v11
	v_add_nc_u32_e32 v11, 0xffffff89, v11
	v_cndmask_b32_e64 v16, v2, 0x77, vcc_lo
	v_or_b32_e32 v2, 0x800000, v6
	s_delay_alu instid0(VALU_DEP_1) | instskip(NEXT) | instid1(VALU_DEP_1)
	v_dual_cndmask_b32 v2, v2, v6 :: v_dual_add_nc_u32 v7, 20, v16
	v_lshlrev_b64_e64 v[6:7], v7, -1
	s_delay_alu instid0(VALU_DEP_2) | instskip(SKIP_1) | instid1(VALU_DEP_1)
	v_lshrrev_b64 v[14:15], v16, v[2:3]
	v_add_nc_u32_e32 v12, 19, v16
	v_lshlrev_b64_e64 v[12:13], v12, 1
	s_delay_alu instid0(VALU_DEP_4) | instskip(SKIP_2) | instid1(VALU_DEP_2)
	v_bfi_b32 v7, v7, 0, 0
	v_bfi_b32 v6, v6, 0, v2
	v_and_b32_e32 v2, 0x100000, v14
	v_cmp_eq_u64_e64 s0, v[6:7], v[12:13]
	s_delay_alu instid0(VALU_DEP_2) | instskip(SKIP_3) | instid1(VALU_DEP_1)
	v_cmp_eq_u64_e64 s1, 0, v[2:3]
	v_cndmask_b32_e64 v2, v11, 0xffffff8a, vcc_lo
	v_lshrrev_b32_e32 v6, 23, v14
                                        ; implicit-def: $vgpr11
	s_and_b32 vcc_lo, s1, s0
	v_add3_u32 v12, v2, v16, v6
	v_subrev_co_ci_u32_e64 v7, null, 0, v14, vcc_lo
	s_mov_b32 s0, exec_lo
	v_and_b32_e32 v2, 0xfffff, v7
	v_add_nc_u32_e32 v13, -1, v12
                                        ; implicit-def: $vgpr6_vgpr7
	s_delay_alu instid0(VALU_DEP_2) | instskip(NEXT) | instid1(VALU_DEP_2)
	v_add_nc_u32_e32 v2, v2, v14
	v_cmpx_ne_u32_e32 0, v13
	s_xor_b32 s0, exec_lo, s0
	s_cbranch_execz .LBB11_21
; %bb.20:                               ;   in Loop: Header=BB11_16 Depth=1
	s_delay_alu instid0(VALU_DEP_2) | instskip(SKIP_2) | instid1(VALU_DEP_2)
	v_and_b32_e32 v14, 0x1000000, v2
	v_mov_b32_e32 v15, v3
	v_bfe_u32 v6, v2, 24, 1
	v_cmp_eq_u64_e32 vcc_lo, 0, v[14:15]
	s_delay_alu instid0(VALU_DEP_2)
	v_lshrrev_b64 v[6:7], v6, v[2:3]
	v_cndmask_b32_e32 v11, v12, v13, vcc_lo
.LBB11_21:                              ;   in Loop: Header=BB11_16 Depth=1
	s_and_not1_saveexec_b32 s0, s0
; %bb.22:                               ;   in Loop: Header=BB11_16 Depth=1
	v_mov_b64_e32 v[6:7], v[2:3]
	v_bfe_u32 v11, v2, 23, 1
; %bb.23:                               ;   in Loop: Header=BB11_16 Depth=1
	s_or_b32 exec_lo, exec_lo, s0
	s_delay_alu instid0(VALU_DEP_2) | instskip(NEXT) | instid1(VALU_DEP_2)
	v_lshrrev_b64 v[6:7], 20, v[6:7]
	v_dual_lshrrev_b32 v2, 24, v5 :: v_dual_min_i32 v5, 15, v11
	v_cmp_gt_i32_e32 vcc_lo, 16, v11
	v_cmp_eq_u32_e64 s0, 0, v11
	s_delay_alu instid0(VALU_DEP_3) | instskip(SKIP_1) | instid1(VALU_DEP_2)
	v_and_b32_e32 v2, 0x80, v2
	v_dual_cndmask_b32 v7, 0, v7 :: v_dual_cndmask_b32 v6, 7, v6
	v_lshl_or_b32 v2, v5, 3, v2
	s_delay_alu instid0(VALU_DEP_2) | instskip(NEXT) | instid1(VALU_DEP_2)
	v_cmp_eq_u64_e32 vcc_lo, 0, v[6:7]
	v_and_or_b32 v2, v6, 7, v2
	s_and_b32 s0, s0, vcc_lo
	s_delay_alu instid0(VALU_DEP_1) | instid1(SALU_CYCLE_1)
	v_cndmask_b32_e64 v2, v2, 0, s0
.LBB11_24:                              ;   in Loop: Header=BB11_16 Depth=1
	s_or_b32 exec_lo, exec_lo, s10
                                        ; implicit-def: $vgpr5
.LBB11_25:                              ;   in Loop: Header=BB11_16 Depth=1
	s_and_not1_saveexec_b32 s0, s7
	s_cbranch_execz .LBB11_14
; %bb.26:                               ;   in Loop: Header=BB11_16 Depth=1
	v_lshrrev_b32_e32 v2, 24, v5
	s_delay_alu instid0(VALU_DEP_1)
	v_or_b32_e32 v2, 0x7f, v2
	s_branch .LBB11_14
.LBB11_27:
	s_endpgm
	.section	.rodata,"a",@progbits
	.p2align	6, 0x0
	.amdhsa_kernel _ZN4vllm42fused_add_rms_norm_static_fp8_quant_kernelIN3c108BFloat16ELi8ENS1_15Float8_e4m3fnuzEEENSt9enable_ifIXooeqT0_Li0Entsr12_typeConvertIT_EE6existsEvE4typeEPT1_PS5_iSA_PKS5_PKffii
		.amdhsa_group_segment_fixed_size 68
		.amdhsa_private_segment_fixed_size 0
		.amdhsa_kernarg_size 320
		.amdhsa_user_sgpr_count 2
		.amdhsa_user_sgpr_dispatch_ptr 0
		.amdhsa_user_sgpr_queue_ptr 0
		.amdhsa_user_sgpr_kernarg_segment_ptr 1
		.amdhsa_user_sgpr_dispatch_id 0
		.amdhsa_user_sgpr_kernarg_preload_length 0
		.amdhsa_user_sgpr_kernarg_preload_offset 0
		.amdhsa_user_sgpr_private_segment_size 0
		.amdhsa_wavefront_size32 1
		.amdhsa_uses_dynamic_stack 0
		.amdhsa_enable_private_segment 0
		.amdhsa_system_sgpr_workgroup_id_x 1
		.amdhsa_system_sgpr_workgroup_id_y 0
		.amdhsa_system_sgpr_workgroup_id_z 0
		.amdhsa_system_sgpr_workgroup_info 0
		.amdhsa_system_vgpr_workitem_id 0
		.amdhsa_next_free_vgpr 17
		.amdhsa_next_free_sgpr 19
		.amdhsa_named_barrier_count 0
		.amdhsa_reserve_vcc 1
		.amdhsa_float_round_mode_32 0
		.amdhsa_float_round_mode_16_64 0
		.amdhsa_float_denorm_mode_32 3
		.amdhsa_float_denorm_mode_16_64 3
		.amdhsa_fp16_overflow 0
		.amdhsa_memory_ordered 1
		.amdhsa_forward_progress 1
		.amdhsa_inst_pref_size 18
		.amdhsa_round_robin_scheduling 0
		.amdhsa_exception_fp_ieee_invalid_op 0
		.amdhsa_exception_fp_denorm_src 0
		.amdhsa_exception_fp_ieee_div_zero 0
		.amdhsa_exception_fp_ieee_overflow 0
		.amdhsa_exception_fp_ieee_underflow 0
		.amdhsa_exception_fp_ieee_inexact 0
		.amdhsa_exception_int_div_zero 0
	.end_amdhsa_kernel
	.section	.text._ZN4vllm42fused_add_rms_norm_static_fp8_quant_kernelIN3c108BFloat16ELi8ENS1_15Float8_e4m3fnuzEEENSt9enable_ifIXooeqT0_Li0Entsr12_typeConvertIT_EE6existsEvE4typeEPT1_PS5_iSA_PKS5_PKffii,"axG",@progbits,_ZN4vllm42fused_add_rms_norm_static_fp8_quant_kernelIN3c108BFloat16ELi8ENS1_15Float8_e4m3fnuzEEENSt9enable_ifIXooeqT0_Li0Entsr12_typeConvertIT_EE6existsEvE4typeEPT1_PS5_iSA_PKS5_PKffii,comdat
.Lfunc_end11:
	.size	_ZN4vllm42fused_add_rms_norm_static_fp8_quant_kernelIN3c108BFloat16ELi8ENS1_15Float8_e4m3fnuzEEENSt9enable_ifIXooeqT0_Li0Entsr12_typeConvertIT_EE6existsEvE4typeEPT1_PS5_iSA_PKS5_PKffii, .Lfunc_end11-_ZN4vllm42fused_add_rms_norm_static_fp8_quant_kernelIN3c108BFloat16ELi8ENS1_15Float8_e4m3fnuzEEENSt9enable_ifIXooeqT0_Li0Entsr12_typeConvertIT_EE6existsEvE4typeEPT1_PS5_iSA_PKS5_PKffii
                                        ; -- End function
	.set _ZN4vllm42fused_add_rms_norm_static_fp8_quant_kernelIN3c108BFloat16ELi8ENS1_15Float8_e4m3fnuzEEENSt9enable_ifIXooeqT0_Li0Entsr12_typeConvertIT_EE6existsEvE4typeEPT1_PS5_iSA_PKS5_PKffii.num_vgpr, 17
	.set _ZN4vllm42fused_add_rms_norm_static_fp8_quant_kernelIN3c108BFloat16ELi8ENS1_15Float8_e4m3fnuzEEENSt9enable_ifIXooeqT0_Li0Entsr12_typeConvertIT_EE6existsEvE4typeEPT1_PS5_iSA_PKS5_PKffii.num_agpr, 0
	.set _ZN4vllm42fused_add_rms_norm_static_fp8_quant_kernelIN3c108BFloat16ELi8ENS1_15Float8_e4m3fnuzEEENSt9enable_ifIXooeqT0_Li0Entsr12_typeConvertIT_EE6existsEvE4typeEPT1_PS5_iSA_PKS5_PKffii.numbered_sgpr, 19
	.set _ZN4vllm42fused_add_rms_norm_static_fp8_quant_kernelIN3c108BFloat16ELi8ENS1_15Float8_e4m3fnuzEEENSt9enable_ifIXooeqT0_Li0Entsr12_typeConvertIT_EE6existsEvE4typeEPT1_PS5_iSA_PKS5_PKffii.num_named_barrier, 0
	.set _ZN4vllm42fused_add_rms_norm_static_fp8_quant_kernelIN3c108BFloat16ELi8ENS1_15Float8_e4m3fnuzEEENSt9enable_ifIXooeqT0_Li0Entsr12_typeConvertIT_EE6existsEvE4typeEPT1_PS5_iSA_PKS5_PKffii.private_seg_size, 0
	.set _ZN4vllm42fused_add_rms_norm_static_fp8_quant_kernelIN3c108BFloat16ELi8ENS1_15Float8_e4m3fnuzEEENSt9enable_ifIXooeqT0_Li0Entsr12_typeConvertIT_EE6existsEvE4typeEPT1_PS5_iSA_PKS5_PKffii.uses_vcc, 1
	.set _ZN4vllm42fused_add_rms_norm_static_fp8_quant_kernelIN3c108BFloat16ELi8ENS1_15Float8_e4m3fnuzEEENSt9enable_ifIXooeqT0_Li0Entsr12_typeConvertIT_EE6existsEvE4typeEPT1_PS5_iSA_PKS5_PKffii.uses_flat_scratch, 0
	.set _ZN4vllm42fused_add_rms_norm_static_fp8_quant_kernelIN3c108BFloat16ELi8ENS1_15Float8_e4m3fnuzEEENSt9enable_ifIXooeqT0_Li0Entsr12_typeConvertIT_EE6existsEvE4typeEPT1_PS5_iSA_PKS5_PKffii.has_dyn_sized_stack, 0
	.set _ZN4vllm42fused_add_rms_norm_static_fp8_quant_kernelIN3c108BFloat16ELi8ENS1_15Float8_e4m3fnuzEEENSt9enable_ifIXooeqT0_Li0Entsr12_typeConvertIT_EE6existsEvE4typeEPT1_PS5_iSA_PKS5_PKffii.has_recursion, 0
	.set _ZN4vllm42fused_add_rms_norm_static_fp8_quant_kernelIN3c108BFloat16ELi8ENS1_15Float8_e4m3fnuzEEENSt9enable_ifIXooeqT0_Li0Entsr12_typeConvertIT_EE6existsEvE4typeEPT1_PS5_iSA_PKS5_PKffii.has_indirect_call, 0
	.section	.AMDGPU.csdata,"",@progbits
; Kernel info:
; codeLenInByte = 2204
; TotalNumSgprs: 21
; NumVgprs: 17
; ScratchSize: 0
; MemoryBound: 0
; FloatMode: 240
; IeeeMode: 1
; LDSByteSize: 68 bytes/workgroup (compile time only)
; SGPRBlocks: 0
; VGPRBlocks: 1
; NumSGPRsForWavesPerEU: 21
; NumVGPRsForWavesPerEU: 17
; NamedBarCnt: 0
; Occupancy: 16
; WaveLimiterHint : 0
; COMPUTE_PGM_RSRC2:SCRATCH_EN: 0
; COMPUTE_PGM_RSRC2:USER_SGPR: 2
; COMPUTE_PGM_RSRC2:TRAP_HANDLER: 0
; COMPUTE_PGM_RSRC2:TGID_X_EN: 1
; COMPUTE_PGM_RSRC2:TGID_Y_EN: 0
; COMPUTE_PGM_RSRC2:TGID_Z_EN: 0
; COMPUTE_PGM_RSRC2:TIDIG_COMP_CNT: 0
	.section	.text._ZN4vllm42fused_add_rms_norm_static_fp8_quant_kernelIfLi0EN3c1013Float8_e4m3fnEEENSt9enable_ifIXooeqT0_Li0Entsr12_typeConvertIT_EE6existsEvE4typeEPT1_PS4_iS9_PKS4_PKffii,"axG",@progbits,_ZN4vllm42fused_add_rms_norm_static_fp8_quant_kernelIfLi0EN3c1013Float8_e4m3fnEEENSt9enable_ifIXooeqT0_Li0Entsr12_typeConvertIT_EE6existsEvE4typeEPT1_PS4_iS9_PKS4_PKffii,comdat
	.protected	_ZN4vllm42fused_add_rms_norm_static_fp8_quant_kernelIfLi0EN3c1013Float8_e4m3fnEEENSt9enable_ifIXooeqT0_Li0Entsr12_typeConvertIT_EE6existsEvE4typeEPT1_PS4_iS9_PKS4_PKffii ; -- Begin function _ZN4vllm42fused_add_rms_norm_static_fp8_quant_kernelIfLi0EN3c1013Float8_e4m3fnEEENSt9enable_ifIXooeqT0_Li0Entsr12_typeConvertIT_EE6existsEvE4typeEPT1_PS4_iS9_PKS4_PKffii
	.globl	_ZN4vllm42fused_add_rms_norm_static_fp8_quant_kernelIfLi0EN3c1013Float8_e4m3fnEEENSt9enable_ifIXooeqT0_Li0Entsr12_typeConvertIT_EE6existsEvE4typeEPT1_PS4_iS9_PKS4_PKffii
	.p2align	8
	.type	_ZN4vllm42fused_add_rms_norm_static_fp8_quant_kernelIfLi0EN3c1013Float8_e4m3fnEEENSt9enable_ifIXooeqT0_Li0Entsr12_typeConvertIT_EE6existsEvE4typeEPT1_PS4_iS9_PKS4_PKffii,@function
_ZN4vllm42fused_add_rms_norm_static_fp8_quant_kernelIfLi0EN3c1013Float8_e4m3fnEEENSt9enable_ifIXooeqT0_Li0Entsr12_typeConvertIT_EE6existsEvE4typeEPT1_PS4_iS9_PKS4_PKffii: ; @_ZN4vllm42fused_add_rms_norm_static_fp8_quant_kernelIfLi0EN3c1013Float8_e4m3fnEEENSt9enable_ifIXooeqT0_Li0Entsr12_typeConvertIT_EE6existsEvE4typeEPT1_PS4_iS9_PKS4_PKffii
; %bb.0:
	s_clause 0x1
	s_load_b32 s11, s[0:1], 0x38
	s_load_b64 s[12:13], s[0:1], 0x18
	s_getreg_b32 s14, hwreg(HW_REG_IB_STS2, 6, 4)
	s_mov_b32 s3, exec_lo
                                        ; implicit-def: $sgpr8
                                        ; implicit-def: $sgpr9
	s_wait_kmcnt 0x0
	v_cmp_gt_i32_e64 s2, s11, v0
	v_cmpx_le_i32_e64 s11, v0
	s_xor_b32 s3, exec_lo, s3
	s_cbranch_execz .LBB12_2
; %bb.1:
	s_load_b32 s4, s[0:1], 0x4c
	s_bfe_u32 s5, ttmp6, 0x4000c
	s_and_b32 s6, ttmp6, 15
	s_add_co_i32 s5, s5, 1
	s_delay_alu instid0(SALU_CYCLE_1) | instskip(NEXT) | instid1(SALU_CYCLE_1)
	s_mul_i32 s5, ttmp9, s5
	s_add_co_i32 s6, s6, s5
	s_cmp_eq_u32 s14, 0
	s_cselect_b32 s8, ttmp9, s6
	s_wait_kmcnt 0x0
	s_and_b32 s9, s4, 0xffff
.LBB12_2:
	s_or_saveexec_b32 s3, s3
	s_load_b128 s[4:7], s[0:1], 0x20
	v_dual_mov_b32 v4, 0 :: v_dual_mov_b32 v2, s8
	v_mov_b32_e32 v1, s9
	s_xor_b32 exec_lo, exec_lo, s3
	s_cbranch_execz .LBB12_6
; %bb.3:
	s_clause 0x1
	s_load_b96 s[8:10], s[0:1], 0x8
	s_load_b32 s18, s[0:1], 0x4c
	s_bfe_u32 s15, ttmp6, 0x4000c
	s_and_b32 s16, ttmp6, 15
	s_add_co_i32 s15, s15, 1
	v_dual_mov_b32 v4, 0 :: v_dual_mov_b32 v1, v0
	s_mul_i32 s17, ttmp9, s15
	s_mov_b32 s15, 0
	s_add_co_i32 s16, s16, s17
	s_cmp_eq_u32 s14, 0
	s_cselect_b32 s14, ttmp9, s16
	s_delay_alu instid0(SALU_CYCLE_1)
	s_mul_i32 s16, s11, s14
	s_wait_kmcnt 0x0
	s_mul_i32 s17, s10, s14
	s_and_b32 s10, s18, 0xffff
.LBB12_4:                               ; =>This Inner Loop Header: Depth=1
	v_dual_add_nc_u32 v2, s17, v1 :: v_dual_add_nc_u32 v3, s16, v1
	global_load_b32 v5, v2, s[8:9] scale_offset
	global_load_b32 v6, v3, s[12:13] scale_offset
	s_wait_loadcnt 0x0
	s_wait_xcnt 0x1
	v_dual_add_f32 v2, v5, v6 :: v_dual_add_nc_u32 v1, s10, v1
	s_delay_alu instid0(VALU_DEP_1) | instskip(NEXT) | instid1(VALU_DEP_2)
	v_cmp_le_i32_e32 vcc_lo, s11, v1
	v_fmac_f32_e32 v4, v2, v2
	s_or_b32 s15, vcc_lo, s15
	global_store_b32 v3, v2, s[12:13] scale_offset
	s_wait_xcnt 0x0
	s_and_not1_b32 exec_lo, exec_lo, s15
	s_cbranch_execnz .LBB12_4
; %bb.5:
	s_or_b32 exec_lo, exec_lo, s15
	v_dual_mov_b32 v2, s14 :: v_dual_mov_b32 v1, s10
.LBB12_6:
	s_or_b32 exec_lo, exec_lo, s3
	v_mbcnt_lo_u32_b32 v3, -1, 0
	v_and_b32_e32 v6, 0x3c0, v0
	s_load_b64 s[8:9], s[0:1], 0x0
	s_mov_b32 s3, exec_lo
	s_delay_alu instid0(VALU_DEP_2) | instskip(NEXT) | instid1(VALU_DEP_2)
	v_cmp_ne_u32_e32 vcc_lo, 63, v3
	v_sub_nc_u32_e64 v6, v1, v6 clamp
	v_add_nc_u32_e32 v8, 1, v3
	v_add_co_ci_u32_e64 v5, null, 0, v3, vcc_lo
	v_cmp_gt_u32_e32 vcc_lo, 62, v3
	s_delay_alu instid0(VALU_DEP_2)
	v_lshlrev_b32_e32 v5, 2, v5
	v_cndmask_b32_e64 v7, 0, 2, vcc_lo
	v_cmp_lt_u32_e32 vcc_lo, v8, v6
	v_add_nc_u32_e32 v8, 2, v3
	ds_bpermute_b32 v5, v5, v4
	v_add_lshl_u32 v7, v7, v3, 2
	s_wait_dscnt 0x0
	v_add_f32_e32 v5, v4, v5
	s_delay_alu instid0(VALU_DEP_1)
	v_cndmask_b32_e32 v4, v4, v5, vcc_lo
	v_cmp_gt_u32_e32 vcc_lo, 60, v3
	ds_bpermute_b32 v5, v7, v4
	v_cndmask_b32_e64 v7, 0, 4, vcc_lo
	v_cmp_lt_u32_e32 vcc_lo, v8, v6
	v_add_nc_u32_e32 v8, 4, v3
	s_delay_alu instid0(VALU_DEP_3) | instskip(SKIP_2) | instid1(VALU_DEP_1)
	v_add_lshl_u32 v7, v7, v3, 2
	s_wait_dscnt 0x0
	v_add_f32_e32 v5, v4, v5
	v_cndmask_b32_e32 v4, v4, v5, vcc_lo
	v_cmp_gt_u32_e32 vcc_lo, 56, v3
	ds_bpermute_b32 v5, v7, v4
	v_cndmask_b32_e64 v7, 0, 8, vcc_lo
	v_cmp_lt_u32_e32 vcc_lo, v8, v6
	v_add_nc_u32_e32 v8, 8, v3
	s_delay_alu instid0(VALU_DEP_3) | instskip(SKIP_2) | instid1(VALU_DEP_1)
	v_add_lshl_u32 v7, v7, v3, 2
	s_wait_dscnt 0x0
	v_add_f32_e32 v5, v4, v5
	v_cndmask_b32_e32 v4, v4, v5, vcc_lo
	v_cmp_gt_u32_e32 vcc_lo, 48, v3
	ds_bpermute_b32 v5, v7, v4
	v_cndmask_b32_e64 v7, 0, 16, vcc_lo
	v_cmp_lt_u32_e32 vcc_lo, v8, v6
	s_delay_alu instid0(VALU_DEP_2) | instskip(SKIP_2) | instid1(VALU_DEP_1)
	v_add_lshl_u32 v7, v7, v3, 2
	s_wait_dscnt 0x0
	v_add_f32_e32 v5, v4, v5
	v_cndmask_b32_e32 v5, v4, v5, vcc_lo
	ds_bpermute_b32 v4, v7, v5
	v_add_nc_u32_e32 v7, 16, v3
	s_delay_alu instid0(VALU_DEP_1) | instskip(SKIP_2) | instid1(VALU_DEP_1)
	v_cmp_lt_u32_e32 vcc_lo, v7, v6
	s_wait_dscnt 0x0
	v_dual_add_f32 v8, v5, v4 :: v_dual_lshlrev_b32 v4, 2, v3
	v_dual_cndmask_b32 v5, v5, v8, vcc_lo :: v_dual_bitop2_b32 v8, 32, v3 bitop3:0x54
	ds_bpermute_b32 v7, v4, v5 offset:128
	v_cmp_lt_u32_e32 vcc_lo, v8, v6
	s_wait_dscnt 0x0
	v_add_f32_e32 v7, v5, v7
	s_delay_alu instid0(VALU_DEP_1)
	v_cndmask_b32_e32 v5, v5, v7, vcc_lo
	v_cmpx_eq_u32_e32 0, v3
; %bb.7:
	v_lshrrev_b32_e32 v6, 4, v0
	s_delay_alu instid0(VALU_DEP_1)
	v_and_b32_e32 v6, 60, v6
	ds_store_b32 v6, v5
; %bb.8:
	s_or_b32 exec_lo, exec_lo, s3
	s_delay_alu instid0(SALU_CYCLE_1)
	s_mov_b32 s10, exec_lo
	s_wait_storecnt_dscnt 0x0
	s_barrier_signal -1
	s_barrier_wait -1
	v_cmpx_gt_u32_e32 16, v0
	s_cbranch_execz .LBB12_10
; %bb.9:
	ds_load_b32 v5, v4
	v_dual_add_nc_u32 v8, 63, v1 :: v_dual_bitop2_b32 v6, 15, v3 bitop3:0x40
	v_or_b32_e32 v4, 32, v4
	s_delay_alu instid0(VALU_DEP_2) | instskip(NEXT) | instid1(VALU_DEP_3)
	v_cmp_ne_u32_e32 vcc_lo, 15, v6
	v_dual_lshrrev_b32 v8, 6, v8 :: v_dual_add_nc_u32 v11, 2, v6
	v_cmp_gt_u32_e64 s3, 12, v6
	v_add_co_ci_u32_e64 v7, null, 0, v3, vcc_lo
	v_cmp_gt_u32_e32 vcc_lo, 14, v6
	s_delay_alu instid0(VALU_DEP_2)
	v_lshlrev_b32_e32 v7, 2, v7
	v_cndmask_b32_e64 v9, 0, 2, vcc_lo
	s_wait_dscnt 0x0
	ds_bpermute_b32 v7, v7, v5
	v_add_nc_u32_e32 v10, 1, v6
	v_add_lshl_u32 v9, v9, v3, 2
	s_wait_dscnt 0x0
	v_add_f32_e32 v7, v5, v7
	s_delay_alu instid0(VALU_DEP_3) | instskip(SKIP_2) | instid1(VALU_DEP_4)
	v_cmp_lt_u32_e32 vcc_lo, v10, v8
	v_cndmask_b32_e64 v10, 0, 4, s3
	v_cmp_lt_u32_e64 s3, v11, v8
	v_cndmask_b32_e32 v7, v5, v7, vcc_lo
	s_delay_alu instid0(VALU_DEP_3) | instskip(SKIP_3) | instid1(VALU_DEP_1)
	v_add_lshl_u32 v3, v10, v3, 2
	ds_bpermute_b32 v9, v9, v7
	s_wait_dscnt 0x0
	v_add_f32_e32 v9, v7, v9
	v_dual_cndmask_b32 v7, v7, v9, s3 :: v_dual_add_nc_u32 v9, 4, v6
	ds_bpermute_b32 v3, v3, v7
	v_cmp_lt_u32_e64 s3, v9, v8
	s_wait_dscnt 0x0
	v_add_f32_e32 v3, v7, v3
	s_delay_alu instid0(VALU_DEP_1) | instskip(SKIP_3) | instid1(VALU_DEP_1)
	v_cndmask_b32_e64 v3, v7, v3, s3
	ds_bpermute_b32 v4, v4, v3
	s_wait_dscnt 0x0
	v_dual_add_nc_u32 v6, 8, v6 :: v_dual_add_f32 v4, v3, v4
	v_cmp_lt_u32_e64 s3, v6, v8
	s_delay_alu instid0(VALU_DEP_1) | instskip(NEXT) | instid1(VALU_DEP_1)
	v_cndmask_b32_e64 v3, v3, v4, s3
	v_cndmask_b32_e32 v5, v5, v3, vcc_lo
.LBB12_10:
	s_or_b32 exec_lo, exec_lo, s10
	s_delay_alu instid0(SALU_CYCLE_1)
	s_mov_b32 s3, exec_lo
	v_cmpx_eq_u32_e32 0, v0
	s_cbranch_execz .LBB12_12
; %bb.11:
	s_cvt_f32_i32 s10, s11
	s_wait_xcnt 0x0
	s_load_b32 s0, s[0:1], 0x30
	s_delay_alu instid0(SALU_CYCLE_1) | instskip(SKIP_1) | instid1(VALU_DEP_2)
	v_div_scale_f32 v3, null, s10, s10, v5
	v_div_scale_f32 v7, vcc_lo, v5, s10, v5
	v_rcp_f32_e32 v4, v3
	v_nop
	s_delay_alu instid0(TRANS32_DEP_1) | instskip(NEXT) | instid1(VALU_DEP_1)
	v_fma_f32 v6, -v3, v4, 1.0
	v_fmac_f32_e32 v4, v6, v4
	s_delay_alu instid0(VALU_DEP_1) | instskip(NEXT) | instid1(VALU_DEP_1)
	v_mul_f32_e32 v6, v7, v4
	v_fma_f32 v8, -v3, v6, v7
	s_delay_alu instid0(VALU_DEP_1) | instskip(NEXT) | instid1(VALU_DEP_1)
	v_fmac_f32_e32 v6, v8, v4
	v_fma_f32 v3, -v3, v6, v7
	s_delay_alu instid0(VALU_DEP_1) | instskip(NEXT) | instid1(VALU_DEP_1)
	v_div_fmas_f32 v3, v3, v4, v6
	v_div_fixup_f32 v3, v3, s10, v5
	s_wait_kmcnt 0x0
	s_delay_alu instid0(VALU_DEP_1) | instskip(NEXT) | instid1(VALU_DEP_1)
	v_add_f32_e32 v3, s0, v3
	v_mul_f32_e32 v4, 0x4b800000, v3
	v_cmp_gt_f32_e32 vcc_lo, 0x800000, v3
	s_delay_alu instid0(VALU_DEP_2) | instskip(NEXT) | instid1(VALU_DEP_1)
	v_cndmask_b32_e32 v3, v3, v4, vcc_lo
	v_rsq_f32_e32 v3, v3
	v_nop
	s_delay_alu instid0(TRANS32_DEP_1) | instskip(NEXT) | instid1(VALU_DEP_1)
	v_mul_f32_e32 v4, 0x45800000, v3
	v_dual_cndmask_b32 v3, v3, v4 :: v_dual_mov_b32 v4, 0
	ds_store_b32 v4, v3 offset:64
.LBB12_12:
	s_or_b32 exec_lo, exec_lo, s3
	s_wait_dscnt 0x0
	s_barrier_signal -1
	s_barrier_wait -1
	s_wait_xcnt 0x0
	s_and_saveexec_b32 s0, s2
	s_cbranch_execz .LBB12_33
; %bb.13:
	s_wait_kmcnt 0x0
	s_load_b32 s0, s[6:7], 0x0
	v_mul_lo_u32 v9, s11, v2
	s_mov_b32 s2, 0
	s_mov_b32 s3, 0x43e00000
	s_wait_kmcnt 0x0
	v_div_scale_f32 v3, null, s0, s0, 1.0
	v_div_scale_f32 v6, vcc_lo, 1.0, s0, 1.0
	s_delay_alu instid0(VALU_DEP_2)
	v_rcp_f32_e32 v4, v3
	v_xor_b32_e32 v5, 0x80000000, v3
	s_delay_alu instid0(TRANS32_DEP_1) | instid1(VALU_DEP_1)
	v_fma_f32 v3, v5, v4, 1.0
	s_delay_alu instid0(VALU_DEP_1) | instskip(NEXT) | instid1(VALU_DEP_1)
	v_dual_fmac_f32 v4, v3, v4 :: v_dual_mov_b32 v3, 0
	v_mul_f32_e32 v7, v6, v4
	s_delay_alu instid0(VALU_DEP_1) | instskip(NEXT) | instid1(VALU_DEP_1)
	v_fma_f32 v8, v5, v7, v6
	v_fmac_f32_e32 v7, v8, v4
	ds_load_b32 v8, v3 offset:64
	v_fmac_f32_e32 v6, v5, v7
	s_delay_alu instid0(VALU_DEP_1) | instskip(NEXT) | instid1(VALU_DEP_1)
	v_div_fmas_f32 v2, v6, v4, v7
	v_div_fixup_f32 v10, v2, s0, 1.0
	s_branch .LBB12_15
.LBB12_14:                              ;   in Loop: Header=BB12_15 Depth=1
	s_or_b32 exec_lo, exec_lo, s0
	v_dual_mov_b32 v5, v3 :: v_dual_add_nc_u32 v0, v0, v1
	s_delay_alu instid0(VALU_DEP_1) | instskip(NEXT) | instid1(VALU_DEP_2)
	v_add_nc_u64_e32 v[4:5], s[8:9], v[4:5]
	v_cmp_le_i32_e32 vcc_lo, s11, v0
	s_or_b32 s2, vcc_lo, s2
	global_store_b8 v[4:5], v2, off
	s_wait_xcnt 0x0
	s_and_not1_b32 exec_lo, exec_lo, s2
	s_cbranch_execz .LBB12_33
.LBB12_15:                              ; =>This Inner Loop Header: Depth=1
	v_add_nc_u32_e32 v4, v9, v0
	global_load_b32 v2, v4, s[12:13] scale_offset
	global_load_b32 v5, v0, s[4:5] scale_offset
	s_wait_loadcnt_dscnt 0x100
	v_mul_f32_e32 v2, v2, v8
	s_wait_loadcnt 0x0
	s_delay_alu instid0(VALU_DEP_1) | instskip(NEXT) | instid1(VALU_DEP_1)
	v_mul_f32_e32 v2, v2, v5
	v_mul_f32_e32 v2, v10, v2
	s_delay_alu instid0(VALU_DEP_1) | instskip(NEXT) | instid1(VALU_DEP_1)
	v_minmax_num_f32 v6, v2, s3, 0xc3e00000
	v_and_b32_e32 v2, 0x7f800000, v6
	v_lshrrev_b32_e32 v5, 24, v6
	s_delay_alu instid0(VALU_DEP_2) | instskip(SKIP_2) | instid1(SALU_CYCLE_1)
	v_cmp_ne_u64_e32 vcc_lo, 0x7f800000, v[2:3]
                                        ; implicit-def: $vgpr2
	s_wait_xcnt 0x0
	s_and_saveexec_b32 s0, vcc_lo
	s_xor_b32 s6, exec_lo, s0
	s_cbranch_execz .LBB12_31
; %bb.16:                               ;   in Loop: Header=BB12_15 Depth=1
	v_and_b32_e32 v2, 0x7fffffff, v6
	v_and_b32_e32 v5, 0x80, v5
	s_delay_alu instid0(VALU_DEP_2) | instskip(SKIP_1) | instid1(SALU_CYCLE_1)
	v_cmp_gt_u64_e32 vcc_lo, 0x43e00001, v[2:3]
                                        ; implicit-def: $vgpr2
	s_and_saveexec_b32 s0, vcc_lo
	s_xor_b32 s7, exec_lo, s0
	s_cbranch_execz .LBB12_28
; %bb.17:                               ;   in Loop: Header=BB12_15 Depth=1
	v_mov_b32_e32 v2, 0
	s_mov_b32 s10, exec_lo
	v_cmpx_ne_u32_e32 0, v6
	s_cbranch_execz .LBB12_27
; %bb.18:                               ;   in Loop: Header=BB12_15 Depth=1
	v_bfe_u32 v11, v6, 23, 8
	v_and_b32_e32 v6, 0x7fffff, v6
	s_delay_alu instid0(VALU_DEP_2) | instskip(SKIP_2) | instid1(VALU_DEP_3)
	v_sub_nc_u32_e64 v2, 0x79, v11 clamp
	v_cmp_eq_u32_e32 vcc_lo, 0, v11
	v_add_nc_u32_e32 v11, 0xffffff88, v11
	v_cndmask_b32_e64 v16, v2, 0x78, vcc_lo
	v_or_b32_e32 v2, 0x800000, v6
	s_delay_alu instid0(VALU_DEP_1) | instskip(NEXT) | instid1(VALU_DEP_1)
	v_dual_cndmask_b32 v2, v2, v6 :: v_dual_add_nc_u32 v7, 20, v16
	v_lshlrev_b64_e64 v[6:7], v7, -1
	s_delay_alu instid0(VALU_DEP_2) | instskip(SKIP_1) | instid1(VALU_DEP_1)
	v_lshrrev_b64 v[14:15], v16, v[2:3]
	v_add_nc_u32_e32 v12, 19, v16
	v_lshlrev_b64_e64 v[12:13], v12, 1
	s_delay_alu instid0(VALU_DEP_4) | instskip(SKIP_2) | instid1(VALU_DEP_2)
	v_bfi_b32 v7, v7, 0, 0
	v_bfi_b32 v6, v6, 0, v2
	v_and_b32_e32 v2, 0x100000, v14
	v_cmp_eq_u64_e64 s0, v[6:7], v[12:13]
	s_delay_alu instid0(VALU_DEP_2) | instskip(SKIP_3) | instid1(VALU_DEP_1)
	v_cmp_eq_u64_e64 s1, 0, v[2:3]
	v_cndmask_b32_e64 v2, v11, 0xffffff89, vcc_lo
	v_lshrrev_b32_e32 v6, 23, v14
                                        ; implicit-def: $vgpr11
	s_and_b32 vcc_lo, s1, s0
	v_add3_u32 v12, v2, v16, v6
	v_subrev_co_ci_u32_e64 v7, null, 0, v14, vcc_lo
	s_mov_b32 s0, exec_lo
	v_and_b32_e32 v2, 0xfffff, v7
	v_add_nc_u32_e32 v13, -1, v12
                                        ; implicit-def: $vgpr6_vgpr7
	s_delay_alu instid0(VALU_DEP_2) | instskip(NEXT) | instid1(VALU_DEP_2)
	v_add_nc_u32_e32 v2, v2, v14
	v_cmpx_ne_u32_e32 0, v13
	s_xor_b32 s0, exec_lo, s0
	s_cbranch_execz .LBB12_20
; %bb.19:                               ;   in Loop: Header=BB12_15 Depth=1
	s_delay_alu instid0(VALU_DEP_2) | instskip(SKIP_2) | instid1(VALU_DEP_2)
	v_and_b32_e32 v14, 0x1000000, v2
	v_mov_b32_e32 v15, v3
	v_bfe_u32 v6, v2, 24, 1
	v_cmp_eq_u64_e32 vcc_lo, 0, v[14:15]
	s_delay_alu instid0(VALU_DEP_2)
	v_lshrrev_b64 v[6:7], v6, v[2:3]
	v_cndmask_b32_e32 v11, v12, v13, vcc_lo
.LBB12_20:                              ;   in Loop: Header=BB12_15 Depth=1
	s_and_not1_saveexec_b32 s0, s0
; %bb.21:                               ;   in Loop: Header=BB12_15 Depth=1
	v_mov_b64_e32 v[6:7], v[2:3]
	v_bfe_u32 v11, v2, 23, 1
; %bb.22:                               ;   in Loop: Header=BB12_15 Depth=1
	s_or_b32 exec_lo, exec_lo, s0
	s_delay_alu instid0(VALU_DEP_2) | instskip(NEXT) | instid1(VALU_DEP_2)
	v_lshrrev_b64 v[6:7], 20, v[6:7]
	v_cmp_gt_i32_e32 vcc_lo, 16, v11
	v_cmp_ne_u32_e64 s0, 0, v11
                                        ; implicit-def: $vgpr2
	s_delay_alu instid0(VALU_DEP_3) | instskip(NEXT) | instid1(VALU_DEP_1)
	v_dual_cndmask_b32 v7, 0, v7 :: v_dual_cndmask_b32 v6, 7, v6
	v_cmp_ne_u64_e32 vcc_lo, 0, v[6:7]
	s_or_b32 s0, s0, vcc_lo
	s_delay_alu instid0(SALU_CYCLE_1) | instskip(NEXT) | instid1(SALU_CYCLE_1)
	s_and_saveexec_b32 s1, s0
	s_xor_b32 s0, exec_lo, s1
; %bb.23:                               ;   in Loop: Header=BB12_15 Depth=1
	v_min_i32_e32 v2, 15, v11
	s_delay_alu instid0(VALU_DEP_1) | instskip(NEXT) | instid1(VALU_DEP_1)
	v_lshl_or_b32 v2, v2, 3, v5
                                        ; implicit-def: $vgpr5
	v_and_or_b32 v2, v6, 7, v2
; %bb.24:                               ;   in Loop: Header=BB12_15 Depth=1
	s_and_not1_saveexec_b32 s0, s0
; %bb.25:                               ;   in Loop: Header=BB12_15 Depth=1
	v_mov_b32_e32 v2, v5
; %bb.26:                               ;   in Loop: Header=BB12_15 Depth=1
	s_or_b32 exec_lo, exec_lo, s0
.LBB12_27:                              ;   in Loop: Header=BB12_15 Depth=1
	s_delay_alu instid0(SALU_CYCLE_1)
	s_or_b32 exec_lo, exec_lo, s10
                                        ; implicit-def: $vgpr5
.LBB12_28:                              ;   in Loop: Header=BB12_15 Depth=1
	s_and_not1_saveexec_b32 s0, s7
; %bb.29:                               ;   in Loop: Header=BB12_15 Depth=1
	v_or_b32_e32 v2, 0x7e, v5
; %bb.30:                               ;   in Loop: Header=BB12_15 Depth=1
	s_or_b32 exec_lo, exec_lo, s0
                                        ; implicit-def: $vgpr5
.LBB12_31:                              ;   in Loop: Header=BB12_15 Depth=1
	s_and_not1_saveexec_b32 s0, s6
	s_cbranch_execz .LBB12_14
; %bb.32:                               ;   in Loop: Header=BB12_15 Depth=1
	v_or_b32_e32 v2, 0x7f, v5
	s_branch .LBB12_14
.LBB12_33:
	s_endpgm
	.section	.rodata,"a",@progbits
	.p2align	6, 0x0
	.amdhsa_kernel _ZN4vllm42fused_add_rms_norm_static_fp8_quant_kernelIfLi0EN3c1013Float8_e4m3fnEEENSt9enable_ifIXooeqT0_Li0Entsr12_typeConvertIT_EE6existsEvE4typeEPT1_PS4_iS9_PKS4_PKffii
		.amdhsa_group_segment_fixed_size 68
		.amdhsa_private_segment_fixed_size 0
		.amdhsa_kernarg_size 320
		.amdhsa_user_sgpr_count 2
		.amdhsa_user_sgpr_dispatch_ptr 0
		.amdhsa_user_sgpr_queue_ptr 0
		.amdhsa_user_sgpr_kernarg_segment_ptr 1
		.amdhsa_user_sgpr_dispatch_id 0
		.amdhsa_user_sgpr_kernarg_preload_length 0
		.amdhsa_user_sgpr_kernarg_preload_offset 0
		.amdhsa_user_sgpr_private_segment_size 0
		.amdhsa_wavefront_size32 1
		.amdhsa_uses_dynamic_stack 0
		.amdhsa_enable_private_segment 0
		.amdhsa_system_sgpr_workgroup_id_x 1
		.amdhsa_system_sgpr_workgroup_id_y 0
		.amdhsa_system_sgpr_workgroup_id_z 0
		.amdhsa_system_sgpr_workgroup_info 0
		.amdhsa_system_vgpr_workitem_id 0
		.amdhsa_next_free_vgpr 17
		.amdhsa_next_free_sgpr 19
		.amdhsa_named_barrier_count 0
		.amdhsa_reserve_vcc 1
		.amdhsa_float_round_mode_32 0
		.amdhsa_float_round_mode_16_64 0
		.amdhsa_float_denorm_mode_32 3
		.amdhsa_float_denorm_mode_16_64 3
		.amdhsa_fp16_overflow 0
		.amdhsa_memory_ordered 1
		.amdhsa_forward_progress 1
		.amdhsa_inst_pref_size 16
		.amdhsa_round_robin_scheduling 0
		.amdhsa_exception_fp_ieee_invalid_op 0
		.amdhsa_exception_fp_denorm_src 0
		.amdhsa_exception_fp_ieee_div_zero 0
		.amdhsa_exception_fp_ieee_overflow 0
		.amdhsa_exception_fp_ieee_underflow 0
		.amdhsa_exception_fp_ieee_inexact 0
		.amdhsa_exception_int_div_zero 0
	.end_amdhsa_kernel
	.section	.text._ZN4vllm42fused_add_rms_norm_static_fp8_quant_kernelIfLi0EN3c1013Float8_e4m3fnEEENSt9enable_ifIXooeqT0_Li0Entsr12_typeConvertIT_EE6existsEvE4typeEPT1_PS4_iS9_PKS4_PKffii,"axG",@progbits,_ZN4vllm42fused_add_rms_norm_static_fp8_quant_kernelIfLi0EN3c1013Float8_e4m3fnEEENSt9enable_ifIXooeqT0_Li0Entsr12_typeConvertIT_EE6existsEvE4typeEPT1_PS4_iS9_PKS4_PKffii,comdat
.Lfunc_end12:
	.size	_ZN4vllm42fused_add_rms_norm_static_fp8_quant_kernelIfLi0EN3c1013Float8_e4m3fnEEENSt9enable_ifIXooeqT0_Li0Entsr12_typeConvertIT_EE6existsEvE4typeEPT1_PS4_iS9_PKS4_PKffii, .Lfunc_end12-_ZN4vllm42fused_add_rms_norm_static_fp8_quant_kernelIfLi0EN3c1013Float8_e4m3fnEEENSt9enable_ifIXooeqT0_Li0Entsr12_typeConvertIT_EE6existsEvE4typeEPT1_PS4_iS9_PKS4_PKffii
                                        ; -- End function
	.set _ZN4vllm42fused_add_rms_norm_static_fp8_quant_kernelIfLi0EN3c1013Float8_e4m3fnEEENSt9enable_ifIXooeqT0_Li0Entsr12_typeConvertIT_EE6existsEvE4typeEPT1_PS4_iS9_PKS4_PKffii.num_vgpr, 17
	.set _ZN4vllm42fused_add_rms_norm_static_fp8_quant_kernelIfLi0EN3c1013Float8_e4m3fnEEENSt9enable_ifIXooeqT0_Li0Entsr12_typeConvertIT_EE6existsEvE4typeEPT1_PS4_iS9_PKS4_PKffii.num_agpr, 0
	.set _ZN4vllm42fused_add_rms_norm_static_fp8_quant_kernelIfLi0EN3c1013Float8_e4m3fnEEENSt9enable_ifIXooeqT0_Li0Entsr12_typeConvertIT_EE6existsEvE4typeEPT1_PS4_iS9_PKS4_PKffii.numbered_sgpr, 19
	.set _ZN4vllm42fused_add_rms_norm_static_fp8_quant_kernelIfLi0EN3c1013Float8_e4m3fnEEENSt9enable_ifIXooeqT0_Li0Entsr12_typeConvertIT_EE6existsEvE4typeEPT1_PS4_iS9_PKS4_PKffii.num_named_barrier, 0
	.set _ZN4vllm42fused_add_rms_norm_static_fp8_quant_kernelIfLi0EN3c1013Float8_e4m3fnEEENSt9enable_ifIXooeqT0_Li0Entsr12_typeConvertIT_EE6existsEvE4typeEPT1_PS4_iS9_PKS4_PKffii.private_seg_size, 0
	.set _ZN4vllm42fused_add_rms_norm_static_fp8_quant_kernelIfLi0EN3c1013Float8_e4m3fnEEENSt9enable_ifIXooeqT0_Li0Entsr12_typeConvertIT_EE6existsEvE4typeEPT1_PS4_iS9_PKS4_PKffii.uses_vcc, 1
	.set _ZN4vllm42fused_add_rms_norm_static_fp8_quant_kernelIfLi0EN3c1013Float8_e4m3fnEEENSt9enable_ifIXooeqT0_Li0Entsr12_typeConvertIT_EE6existsEvE4typeEPT1_PS4_iS9_PKS4_PKffii.uses_flat_scratch, 0
	.set _ZN4vllm42fused_add_rms_norm_static_fp8_quant_kernelIfLi0EN3c1013Float8_e4m3fnEEENSt9enable_ifIXooeqT0_Li0Entsr12_typeConvertIT_EE6existsEvE4typeEPT1_PS4_iS9_PKS4_PKffii.has_dyn_sized_stack, 0
	.set _ZN4vllm42fused_add_rms_norm_static_fp8_quant_kernelIfLi0EN3c1013Float8_e4m3fnEEENSt9enable_ifIXooeqT0_Li0Entsr12_typeConvertIT_EE6existsEvE4typeEPT1_PS4_iS9_PKS4_PKffii.has_recursion, 0
	.set _ZN4vllm42fused_add_rms_norm_static_fp8_quant_kernelIfLi0EN3c1013Float8_e4m3fnEEENSt9enable_ifIXooeqT0_Li0Entsr12_typeConvertIT_EE6existsEvE4typeEPT1_PS4_iS9_PKS4_PKffii.has_indirect_call, 0
	.section	.AMDGPU.csdata,"",@progbits
; Kernel info:
; codeLenInByte = 2036
; TotalNumSgprs: 21
; NumVgprs: 17
; ScratchSize: 0
; MemoryBound: 0
; FloatMode: 240
; IeeeMode: 1
; LDSByteSize: 68 bytes/workgroup (compile time only)
; SGPRBlocks: 0
; VGPRBlocks: 1
; NumSGPRsForWavesPerEU: 21
; NumVGPRsForWavesPerEU: 17
; NamedBarCnt: 0
; Occupancy: 16
; WaveLimiterHint : 0
; COMPUTE_PGM_RSRC2:SCRATCH_EN: 0
; COMPUTE_PGM_RSRC2:USER_SGPR: 2
; COMPUTE_PGM_RSRC2:TRAP_HANDLER: 0
; COMPUTE_PGM_RSRC2:TGID_X_EN: 1
; COMPUTE_PGM_RSRC2:TGID_Y_EN: 0
; COMPUTE_PGM_RSRC2:TGID_Z_EN: 0
; COMPUTE_PGM_RSRC2:TIDIG_COMP_CNT: 0
	.section	.text._ZN4vllm42fused_add_rms_norm_static_fp8_quant_kernelIfLi0EN3c1015Float8_e4m3fnuzEEENSt9enable_ifIXooeqT0_Li0Entsr12_typeConvertIT_EE6existsEvE4typeEPT1_PS4_iS9_PKS4_PKffii,"axG",@progbits,_ZN4vllm42fused_add_rms_norm_static_fp8_quant_kernelIfLi0EN3c1015Float8_e4m3fnuzEEENSt9enable_ifIXooeqT0_Li0Entsr12_typeConvertIT_EE6existsEvE4typeEPT1_PS4_iS9_PKS4_PKffii,comdat
	.protected	_ZN4vllm42fused_add_rms_norm_static_fp8_quant_kernelIfLi0EN3c1015Float8_e4m3fnuzEEENSt9enable_ifIXooeqT0_Li0Entsr12_typeConvertIT_EE6existsEvE4typeEPT1_PS4_iS9_PKS4_PKffii ; -- Begin function _ZN4vllm42fused_add_rms_norm_static_fp8_quant_kernelIfLi0EN3c1015Float8_e4m3fnuzEEENSt9enable_ifIXooeqT0_Li0Entsr12_typeConvertIT_EE6existsEvE4typeEPT1_PS4_iS9_PKS4_PKffii
	.globl	_ZN4vllm42fused_add_rms_norm_static_fp8_quant_kernelIfLi0EN3c1015Float8_e4m3fnuzEEENSt9enable_ifIXooeqT0_Li0Entsr12_typeConvertIT_EE6existsEvE4typeEPT1_PS4_iS9_PKS4_PKffii
	.p2align	8
	.type	_ZN4vllm42fused_add_rms_norm_static_fp8_quant_kernelIfLi0EN3c1015Float8_e4m3fnuzEEENSt9enable_ifIXooeqT0_Li0Entsr12_typeConvertIT_EE6existsEvE4typeEPT1_PS4_iS9_PKS4_PKffii,@function
_ZN4vllm42fused_add_rms_norm_static_fp8_quant_kernelIfLi0EN3c1015Float8_e4m3fnuzEEENSt9enable_ifIXooeqT0_Li0Entsr12_typeConvertIT_EE6existsEvE4typeEPT1_PS4_iS9_PKS4_PKffii: ; @_ZN4vllm42fused_add_rms_norm_static_fp8_quant_kernelIfLi0EN3c1015Float8_e4m3fnuzEEENSt9enable_ifIXooeqT0_Li0Entsr12_typeConvertIT_EE6existsEvE4typeEPT1_PS4_iS9_PKS4_PKffii
; %bb.0:
	s_clause 0x1
	s_load_b32 s11, s[0:1], 0x38
	s_load_b64 s[12:13], s[0:1], 0x18
	s_getreg_b32 s14, hwreg(HW_REG_IB_STS2, 6, 4)
	s_mov_b32 s3, exec_lo
                                        ; implicit-def: $sgpr8
                                        ; implicit-def: $sgpr9
	s_wait_kmcnt 0x0
	v_cmp_gt_i32_e64 s2, s11, v0
	v_cmpx_le_i32_e64 s11, v0
	s_xor_b32 s3, exec_lo, s3
	s_cbranch_execz .LBB13_2
; %bb.1:
	s_load_b32 s4, s[0:1], 0x4c
	s_bfe_u32 s5, ttmp6, 0x4000c
	s_and_b32 s6, ttmp6, 15
	s_add_co_i32 s5, s5, 1
	s_delay_alu instid0(SALU_CYCLE_1) | instskip(NEXT) | instid1(SALU_CYCLE_1)
	s_mul_i32 s5, ttmp9, s5
	s_add_co_i32 s6, s6, s5
	s_cmp_eq_u32 s14, 0
	s_cselect_b32 s8, ttmp9, s6
	s_wait_kmcnt 0x0
	s_and_b32 s9, s4, 0xffff
.LBB13_2:
	s_or_saveexec_b32 s3, s3
	s_load_b128 s[4:7], s[0:1], 0x20
	v_dual_mov_b32 v4, 0 :: v_dual_mov_b32 v2, s8
	v_mov_b32_e32 v1, s9
	s_xor_b32 exec_lo, exec_lo, s3
	s_cbranch_execz .LBB13_6
; %bb.3:
	s_clause 0x1
	s_load_b96 s[8:10], s[0:1], 0x8
	s_load_b32 s18, s[0:1], 0x4c
	s_bfe_u32 s15, ttmp6, 0x4000c
	s_and_b32 s16, ttmp6, 15
	s_add_co_i32 s15, s15, 1
	v_dual_mov_b32 v4, 0 :: v_dual_mov_b32 v1, v0
	s_mul_i32 s17, ttmp9, s15
	s_mov_b32 s15, 0
	s_add_co_i32 s16, s16, s17
	s_cmp_eq_u32 s14, 0
	s_cselect_b32 s14, ttmp9, s16
	s_delay_alu instid0(SALU_CYCLE_1)
	s_mul_i32 s16, s11, s14
	s_wait_kmcnt 0x0
	s_mul_i32 s17, s10, s14
	s_and_b32 s10, s18, 0xffff
.LBB13_4:                               ; =>This Inner Loop Header: Depth=1
	v_dual_add_nc_u32 v2, s17, v1 :: v_dual_add_nc_u32 v3, s16, v1
	global_load_b32 v5, v2, s[8:9] scale_offset
	global_load_b32 v6, v3, s[12:13] scale_offset
	s_wait_loadcnt 0x0
	s_wait_xcnt 0x1
	v_dual_add_f32 v2, v5, v6 :: v_dual_add_nc_u32 v1, s10, v1
	s_delay_alu instid0(VALU_DEP_1) | instskip(NEXT) | instid1(VALU_DEP_2)
	v_cmp_le_i32_e32 vcc_lo, s11, v1
	v_fmac_f32_e32 v4, v2, v2
	s_or_b32 s15, vcc_lo, s15
	global_store_b32 v3, v2, s[12:13] scale_offset
	s_wait_xcnt 0x0
	s_and_not1_b32 exec_lo, exec_lo, s15
	s_cbranch_execnz .LBB13_4
; %bb.5:
	s_or_b32 exec_lo, exec_lo, s15
	v_dual_mov_b32 v2, s14 :: v_dual_mov_b32 v1, s10
.LBB13_6:
	s_or_b32 exec_lo, exec_lo, s3
	v_mbcnt_lo_u32_b32 v3, -1, 0
	v_and_b32_e32 v6, 0x3c0, v0
	s_load_b64 s[8:9], s[0:1], 0x0
	s_mov_b32 s3, exec_lo
	s_delay_alu instid0(VALU_DEP_2) | instskip(NEXT) | instid1(VALU_DEP_2)
	v_cmp_ne_u32_e32 vcc_lo, 63, v3
	v_sub_nc_u32_e64 v6, v1, v6 clamp
	v_add_nc_u32_e32 v8, 1, v3
	v_add_co_ci_u32_e64 v5, null, 0, v3, vcc_lo
	v_cmp_gt_u32_e32 vcc_lo, 62, v3
	s_delay_alu instid0(VALU_DEP_2)
	v_lshlrev_b32_e32 v5, 2, v5
	v_cndmask_b32_e64 v7, 0, 2, vcc_lo
	v_cmp_lt_u32_e32 vcc_lo, v8, v6
	v_add_nc_u32_e32 v8, 2, v3
	ds_bpermute_b32 v5, v5, v4
	v_add_lshl_u32 v7, v7, v3, 2
	s_wait_dscnt 0x0
	v_add_f32_e32 v5, v4, v5
	s_delay_alu instid0(VALU_DEP_1)
	v_cndmask_b32_e32 v4, v4, v5, vcc_lo
	v_cmp_gt_u32_e32 vcc_lo, 60, v3
	ds_bpermute_b32 v5, v7, v4
	v_cndmask_b32_e64 v7, 0, 4, vcc_lo
	v_cmp_lt_u32_e32 vcc_lo, v8, v6
	v_add_nc_u32_e32 v8, 4, v3
	s_delay_alu instid0(VALU_DEP_3) | instskip(SKIP_2) | instid1(VALU_DEP_1)
	v_add_lshl_u32 v7, v7, v3, 2
	s_wait_dscnt 0x0
	v_add_f32_e32 v5, v4, v5
	v_cndmask_b32_e32 v4, v4, v5, vcc_lo
	v_cmp_gt_u32_e32 vcc_lo, 56, v3
	ds_bpermute_b32 v5, v7, v4
	v_cndmask_b32_e64 v7, 0, 8, vcc_lo
	v_cmp_lt_u32_e32 vcc_lo, v8, v6
	v_add_nc_u32_e32 v8, 8, v3
	s_delay_alu instid0(VALU_DEP_3) | instskip(SKIP_2) | instid1(VALU_DEP_1)
	v_add_lshl_u32 v7, v7, v3, 2
	s_wait_dscnt 0x0
	v_add_f32_e32 v5, v4, v5
	v_cndmask_b32_e32 v4, v4, v5, vcc_lo
	v_cmp_gt_u32_e32 vcc_lo, 48, v3
	ds_bpermute_b32 v5, v7, v4
	v_cndmask_b32_e64 v7, 0, 16, vcc_lo
	v_cmp_lt_u32_e32 vcc_lo, v8, v6
	s_delay_alu instid0(VALU_DEP_2) | instskip(SKIP_2) | instid1(VALU_DEP_1)
	v_add_lshl_u32 v7, v7, v3, 2
	s_wait_dscnt 0x0
	v_add_f32_e32 v5, v4, v5
	v_cndmask_b32_e32 v5, v4, v5, vcc_lo
	ds_bpermute_b32 v4, v7, v5
	v_add_nc_u32_e32 v7, 16, v3
	s_delay_alu instid0(VALU_DEP_1) | instskip(SKIP_2) | instid1(VALU_DEP_1)
	v_cmp_lt_u32_e32 vcc_lo, v7, v6
	s_wait_dscnt 0x0
	v_dual_add_f32 v8, v5, v4 :: v_dual_lshlrev_b32 v4, 2, v3
	v_dual_cndmask_b32 v5, v5, v8, vcc_lo :: v_dual_bitop2_b32 v8, 32, v3 bitop3:0x54
	ds_bpermute_b32 v7, v4, v5 offset:128
	v_cmp_lt_u32_e32 vcc_lo, v8, v6
	s_wait_dscnt 0x0
	v_add_f32_e32 v7, v5, v7
	s_delay_alu instid0(VALU_DEP_1)
	v_cndmask_b32_e32 v5, v5, v7, vcc_lo
	v_cmpx_eq_u32_e32 0, v3
; %bb.7:
	v_lshrrev_b32_e32 v6, 4, v0
	s_delay_alu instid0(VALU_DEP_1)
	v_and_b32_e32 v6, 60, v6
	ds_store_b32 v6, v5
; %bb.8:
	s_or_b32 exec_lo, exec_lo, s3
	s_delay_alu instid0(SALU_CYCLE_1)
	s_mov_b32 s10, exec_lo
	s_wait_storecnt_dscnt 0x0
	s_barrier_signal -1
	s_barrier_wait -1
	v_cmpx_gt_u32_e32 16, v0
	s_cbranch_execz .LBB13_10
; %bb.9:
	ds_load_b32 v5, v4
	v_dual_add_nc_u32 v8, 63, v1 :: v_dual_bitop2_b32 v6, 15, v3 bitop3:0x40
	v_or_b32_e32 v4, 32, v4
	s_delay_alu instid0(VALU_DEP_2) | instskip(NEXT) | instid1(VALU_DEP_3)
	v_cmp_ne_u32_e32 vcc_lo, 15, v6
	v_dual_lshrrev_b32 v8, 6, v8 :: v_dual_add_nc_u32 v11, 2, v6
	v_cmp_gt_u32_e64 s3, 12, v6
	v_add_co_ci_u32_e64 v7, null, 0, v3, vcc_lo
	v_cmp_gt_u32_e32 vcc_lo, 14, v6
	s_delay_alu instid0(VALU_DEP_2)
	v_lshlrev_b32_e32 v7, 2, v7
	v_cndmask_b32_e64 v9, 0, 2, vcc_lo
	s_wait_dscnt 0x0
	ds_bpermute_b32 v7, v7, v5
	v_add_nc_u32_e32 v10, 1, v6
	v_add_lshl_u32 v9, v9, v3, 2
	s_wait_dscnt 0x0
	v_add_f32_e32 v7, v5, v7
	s_delay_alu instid0(VALU_DEP_3) | instskip(SKIP_2) | instid1(VALU_DEP_4)
	v_cmp_lt_u32_e32 vcc_lo, v10, v8
	v_cndmask_b32_e64 v10, 0, 4, s3
	v_cmp_lt_u32_e64 s3, v11, v8
	v_cndmask_b32_e32 v7, v5, v7, vcc_lo
	s_delay_alu instid0(VALU_DEP_3) | instskip(SKIP_3) | instid1(VALU_DEP_1)
	v_add_lshl_u32 v3, v10, v3, 2
	ds_bpermute_b32 v9, v9, v7
	s_wait_dscnt 0x0
	v_add_f32_e32 v9, v7, v9
	v_dual_cndmask_b32 v7, v7, v9, s3 :: v_dual_add_nc_u32 v9, 4, v6
	ds_bpermute_b32 v3, v3, v7
	v_cmp_lt_u32_e64 s3, v9, v8
	s_wait_dscnt 0x0
	v_add_f32_e32 v3, v7, v3
	s_delay_alu instid0(VALU_DEP_1) | instskip(SKIP_3) | instid1(VALU_DEP_1)
	v_cndmask_b32_e64 v3, v7, v3, s3
	ds_bpermute_b32 v4, v4, v3
	s_wait_dscnt 0x0
	v_dual_add_nc_u32 v6, 8, v6 :: v_dual_add_f32 v4, v3, v4
	v_cmp_lt_u32_e64 s3, v6, v8
	s_delay_alu instid0(VALU_DEP_1) | instskip(NEXT) | instid1(VALU_DEP_1)
	v_cndmask_b32_e64 v3, v3, v4, s3
	v_cndmask_b32_e32 v5, v5, v3, vcc_lo
.LBB13_10:
	s_or_b32 exec_lo, exec_lo, s10
	s_delay_alu instid0(SALU_CYCLE_1)
	s_mov_b32 s3, exec_lo
	v_cmpx_eq_u32_e32 0, v0
	s_cbranch_execz .LBB13_12
; %bb.11:
	s_cvt_f32_i32 s10, s11
	s_wait_xcnt 0x0
	s_load_b32 s0, s[0:1], 0x30
	s_delay_alu instid0(SALU_CYCLE_1) | instskip(SKIP_1) | instid1(VALU_DEP_2)
	v_div_scale_f32 v3, null, s10, s10, v5
	v_div_scale_f32 v7, vcc_lo, v5, s10, v5
	v_rcp_f32_e32 v4, v3
	v_nop
	s_delay_alu instid0(TRANS32_DEP_1) | instskip(NEXT) | instid1(VALU_DEP_1)
	v_fma_f32 v6, -v3, v4, 1.0
	v_fmac_f32_e32 v4, v6, v4
	s_delay_alu instid0(VALU_DEP_1) | instskip(NEXT) | instid1(VALU_DEP_1)
	v_mul_f32_e32 v6, v7, v4
	v_fma_f32 v8, -v3, v6, v7
	s_delay_alu instid0(VALU_DEP_1) | instskip(NEXT) | instid1(VALU_DEP_1)
	v_fmac_f32_e32 v6, v8, v4
	v_fma_f32 v3, -v3, v6, v7
	s_delay_alu instid0(VALU_DEP_1) | instskip(NEXT) | instid1(VALU_DEP_1)
	v_div_fmas_f32 v3, v3, v4, v6
	v_div_fixup_f32 v3, v3, s10, v5
	s_wait_kmcnt 0x0
	s_delay_alu instid0(VALU_DEP_1) | instskip(NEXT) | instid1(VALU_DEP_1)
	v_add_f32_e32 v3, s0, v3
	v_mul_f32_e32 v4, 0x4b800000, v3
	v_cmp_gt_f32_e32 vcc_lo, 0x800000, v3
	s_delay_alu instid0(VALU_DEP_2) | instskip(NEXT) | instid1(VALU_DEP_1)
	v_cndmask_b32_e32 v3, v3, v4, vcc_lo
	v_rsq_f32_e32 v3, v3
	v_nop
	s_delay_alu instid0(TRANS32_DEP_1) | instskip(NEXT) | instid1(VALU_DEP_1)
	v_mul_f32_e32 v4, 0x45800000, v3
	v_dual_cndmask_b32 v3, v3, v4 :: v_dual_mov_b32 v4, 0
	ds_store_b32 v4, v3 offset:64
.LBB13_12:
	s_or_b32 exec_lo, exec_lo, s3
	s_wait_dscnt 0x0
	s_barrier_signal -1
	s_barrier_wait -1
	s_wait_xcnt 0x0
	s_and_saveexec_b32 s0, s2
	s_cbranch_execz .LBB13_27
; %bb.13:
	s_wait_kmcnt 0x0
	s_load_b32 s0, s[6:7], 0x0
	v_mul_lo_u32 v9, s11, v2
	s_mov_b32 s2, 0
	s_mov_b32 s3, 0x43600000
	s_wait_kmcnt 0x0
	v_div_scale_f32 v3, null, s0, s0, 1.0
	v_div_scale_f32 v6, vcc_lo, 1.0, s0, 1.0
	s_delay_alu instid0(VALU_DEP_2)
	v_rcp_f32_e32 v4, v3
	v_xor_b32_e32 v5, 0x80000000, v3
	s_delay_alu instid0(TRANS32_DEP_1) | instid1(VALU_DEP_1)
	v_fma_f32 v3, v5, v4, 1.0
	s_delay_alu instid0(VALU_DEP_1) | instskip(NEXT) | instid1(VALU_DEP_1)
	v_dual_fmac_f32 v4, v3, v4 :: v_dual_mov_b32 v3, 0
	v_mul_f32_e32 v7, v6, v4
	s_delay_alu instid0(VALU_DEP_1) | instskip(NEXT) | instid1(VALU_DEP_1)
	v_fma_f32 v8, v5, v7, v6
	v_fmac_f32_e32 v7, v8, v4
	ds_load_b32 v8, v3 offset:64
	v_fmac_f32_e32 v6, v5, v7
	s_delay_alu instid0(VALU_DEP_1) | instskip(NEXT) | instid1(VALU_DEP_1)
	v_div_fmas_f32 v2, v6, v4, v7
	v_div_fixup_f32 v10, v2, s0, 1.0
	s_branch .LBB13_16
.LBB13_14:                              ;   in Loop: Header=BB13_16 Depth=1
	s_or_b32 exec_lo, exec_lo, s0
.LBB13_15:                              ;   in Loop: Header=BB13_16 Depth=1
	s_delay_alu instid0(SALU_CYCLE_1) | instskip(SKIP_1) | instid1(VALU_DEP_1)
	s_or_b32 exec_lo, exec_lo, s6
	v_dual_mov_b32 v5, v3 :: v_dual_add_nc_u32 v0, v0, v1
	v_add_nc_u64_e32 v[4:5], s[8:9], v[4:5]
	s_delay_alu instid0(VALU_DEP_2)
	v_cmp_le_i32_e32 vcc_lo, s11, v0
	s_or_b32 s2, vcc_lo, s2
	global_store_b8 v[4:5], v2, off
	s_wait_xcnt 0x0
	s_and_not1_b32 exec_lo, exec_lo, s2
	s_cbranch_execz .LBB13_27
.LBB13_16:                              ; =>This Inner Loop Header: Depth=1
	v_add_nc_u32_e32 v4, v9, v0
	global_load_b32 v2, v4, s[12:13] scale_offset
	global_load_b32 v5, v0, s[4:5] scale_offset
	s_wait_loadcnt_dscnt 0x100
	v_mul_f32_e32 v2, v2, v8
	s_wait_loadcnt 0x0
	s_delay_alu instid0(VALU_DEP_1) | instskip(NEXT) | instid1(VALU_DEP_1)
	v_mul_f32_e32 v2, v2, v5
	v_mul_f32_e32 v2, v10, v2
	s_delay_alu instid0(VALU_DEP_1) | instskip(NEXT) | instid1(VALU_DEP_1)
	v_minmax_num_f32 v5, v2, s3, 0xc3600000
	v_and_b32_e32 v2, 0x7f800000, v5
	s_delay_alu instid0(VALU_DEP_1)
	v_cmp_ne_u64_e32 vcc_lo, 0x7f800000, v[2:3]
	v_mov_b32_e32 v2, 0x80
	s_wait_xcnt 0x0
	s_and_saveexec_b32 s6, vcc_lo
	s_cbranch_execz .LBB13_15
; %bb.17:                               ;   in Loop: Header=BB13_16 Depth=1
	v_and_b32_e32 v2, 0x7fffffff, v5
	s_delay_alu instid0(VALU_DEP_1) | instskip(SKIP_1) | instid1(SALU_CYCLE_1)
	v_cmp_gt_u64_e32 vcc_lo, 0x43700001, v[2:3]
                                        ; implicit-def: $vgpr2
	s_and_saveexec_b32 s0, vcc_lo
	s_xor_b32 s7, exec_lo, s0
	s_cbranch_execz .LBB13_25
; %bb.18:                               ;   in Loop: Header=BB13_16 Depth=1
	v_mov_b32_e32 v2, 0
	s_mov_b32 s10, exec_lo
	v_cmpx_ne_u32_e32 0, v5
	s_cbranch_execz .LBB13_24
; %bb.19:                               ;   in Loop: Header=BB13_16 Depth=1
	v_bfe_u32 v11, v5, 23, 8
	v_and_b32_e32 v6, 0x7fffff, v5
	s_delay_alu instid0(VALU_DEP_2) | instskip(SKIP_2) | instid1(VALU_DEP_3)
	v_sub_nc_u32_e64 v2, 0x78, v11 clamp
	v_cmp_eq_u32_e32 vcc_lo, 0, v11
	v_add_nc_u32_e32 v11, 0xffffff89, v11
	v_cndmask_b32_e64 v16, v2, 0x77, vcc_lo
	v_or_b32_e32 v2, 0x800000, v6
	s_delay_alu instid0(VALU_DEP_1) | instskip(NEXT) | instid1(VALU_DEP_1)
	v_dual_cndmask_b32 v2, v2, v6 :: v_dual_add_nc_u32 v7, 20, v16
	v_lshlrev_b64_e64 v[6:7], v7, -1
	s_delay_alu instid0(VALU_DEP_2) | instskip(SKIP_1) | instid1(VALU_DEP_1)
	v_lshrrev_b64 v[14:15], v16, v[2:3]
	v_add_nc_u32_e32 v12, 19, v16
	v_lshlrev_b64_e64 v[12:13], v12, 1
	s_delay_alu instid0(VALU_DEP_4) | instskip(SKIP_2) | instid1(VALU_DEP_2)
	v_bfi_b32 v7, v7, 0, 0
	v_bfi_b32 v6, v6, 0, v2
	v_and_b32_e32 v2, 0x100000, v14
	v_cmp_eq_u64_e64 s0, v[6:7], v[12:13]
	s_delay_alu instid0(VALU_DEP_2) | instskip(SKIP_3) | instid1(VALU_DEP_1)
	v_cmp_eq_u64_e64 s1, 0, v[2:3]
	v_cndmask_b32_e64 v2, v11, 0xffffff8a, vcc_lo
	v_lshrrev_b32_e32 v6, 23, v14
                                        ; implicit-def: $vgpr11
	s_and_b32 vcc_lo, s1, s0
	v_add3_u32 v12, v2, v16, v6
	v_subrev_co_ci_u32_e64 v7, null, 0, v14, vcc_lo
	s_mov_b32 s0, exec_lo
	v_and_b32_e32 v2, 0xfffff, v7
	v_add_nc_u32_e32 v13, -1, v12
                                        ; implicit-def: $vgpr6_vgpr7
	s_delay_alu instid0(VALU_DEP_2) | instskip(NEXT) | instid1(VALU_DEP_2)
	v_add_nc_u32_e32 v2, v2, v14
	v_cmpx_ne_u32_e32 0, v13
	s_xor_b32 s0, exec_lo, s0
	s_cbranch_execz .LBB13_21
; %bb.20:                               ;   in Loop: Header=BB13_16 Depth=1
	s_delay_alu instid0(VALU_DEP_2) | instskip(SKIP_2) | instid1(VALU_DEP_2)
	v_and_b32_e32 v14, 0x1000000, v2
	v_mov_b32_e32 v15, v3
	v_bfe_u32 v6, v2, 24, 1
	v_cmp_eq_u64_e32 vcc_lo, 0, v[14:15]
	s_delay_alu instid0(VALU_DEP_2)
	v_lshrrev_b64 v[6:7], v6, v[2:3]
	v_cndmask_b32_e32 v11, v12, v13, vcc_lo
.LBB13_21:                              ;   in Loop: Header=BB13_16 Depth=1
	s_and_not1_saveexec_b32 s0, s0
; %bb.22:                               ;   in Loop: Header=BB13_16 Depth=1
	v_mov_b64_e32 v[6:7], v[2:3]
	v_bfe_u32 v11, v2, 23, 1
; %bb.23:                               ;   in Loop: Header=BB13_16 Depth=1
	s_or_b32 exec_lo, exec_lo, s0
	s_delay_alu instid0(VALU_DEP_2) | instskip(NEXT) | instid1(VALU_DEP_2)
	v_lshrrev_b64 v[6:7], 20, v[6:7]
	v_dual_lshrrev_b32 v2, 24, v5 :: v_dual_min_i32 v5, 15, v11
	v_cmp_gt_i32_e32 vcc_lo, 16, v11
	v_cmp_eq_u32_e64 s0, 0, v11
	s_delay_alu instid0(VALU_DEP_3) | instskip(SKIP_1) | instid1(VALU_DEP_2)
	v_and_b32_e32 v2, 0x80, v2
	v_dual_cndmask_b32 v7, 0, v7 :: v_dual_cndmask_b32 v6, 7, v6
	v_lshl_or_b32 v2, v5, 3, v2
	s_delay_alu instid0(VALU_DEP_2) | instskip(NEXT) | instid1(VALU_DEP_2)
	v_cmp_eq_u64_e32 vcc_lo, 0, v[6:7]
	v_and_or_b32 v2, v6, 7, v2
	s_and_b32 s0, s0, vcc_lo
	s_delay_alu instid0(VALU_DEP_1) | instid1(SALU_CYCLE_1)
	v_cndmask_b32_e64 v2, v2, 0, s0
.LBB13_24:                              ;   in Loop: Header=BB13_16 Depth=1
	s_or_b32 exec_lo, exec_lo, s10
                                        ; implicit-def: $vgpr5
.LBB13_25:                              ;   in Loop: Header=BB13_16 Depth=1
	s_and_not1_saveexec_b32 s0, s7
	s_cbranch_execz .LBB13_14
; %bb.26:                               ;   in Loop: Header=BB13_16 Depth=1
	v_lshrrev_b32_e32 v2, 24, v5
	s_delay_alu instid0(VALU_DEP_1)
	v_or_b32_e32 v2, 0x7f, v2
	s_branch .LBB13_14
.LBB13_27:
	s_endpgm
	.section	.rodata,"a",@progbits
	.p2align	6, 0x0
	.amdhsa_kernel _ZN4vllm42fused_add_rms_norm_static_fp8_quant_kernelIfLi0EN3c1015Float8_e4m3fnuzEEENSt9enable_ifIXooeqT0_Li0Entsr12_typeConvertIT_EE6existsEvE4typeEPT1_PS4_iS9_PKS4_PKffii
		.amdhsa_group_segment_fixed_size 68
		.amdhsa_private_segment_fixed_size 0
		.amdhsa_kernarg_size 320
		.amdhsa_user_sgpr_count 2
		.amdhsa_user_sgpr_dispatch_ptr 0
		.amdhsa_user_sgpr_queue_ptr 0
		.amdhsa_user_sgpr_kernarg_segment_ptr 1
		.amdhsa_user_sgpr_dispatch_id 0
		.amdhsa_user_sgpr_kernarg_preload_length 0
		.amdhsa_user_sgpr_kernarg_preload_offset 0
		.amdhsa_user_sgpr_private_segment_size 0
		.amdhsa_wavefront_size32 1
		.amdhsa_uses_dynamic_stack 0
		.amdhsa_enable_private_segment 0
		.amdhsa_system_sgpr_workgroup_id_x 1
		.amdhsa_system_sgpr_workgroup_id_y 0
		.amdhsa_system_sgpr_workgroup_id_z 0
		.amdhsa_system_sgpr_workgroup_info 0
		.amdhsa_system_vgpr_workitem_id 0
		.amdhsa_next_free_vgpr 17
		.amdhsa_next_free_sgpr 19
		.amdhsa_named_barrier_count 0
		.amdhsa_reserve_vcc 1
		.amdhsa_float_round_mode_32 0
		.amdhsa_float_round_mode_16_64 0
		.amdhsa_float_denorm_mode_32 3
		.amdhsa_float_denorm_mode_16_64 3
		.amdhsa_fp16_overflow 0
		.amdhsa_memory_ordered 1
		.amdhsa_forward_progress 1
		.amdhsa_inst_pref_size 16
		.amdhsa_round_robin_scheduling 0
		.amdhsa_exception_fp_ieee_invalid_op 0
		.amdhsa_exception_fp_denorm_src 0
		.amdhsa_exception_fp_ieee_div_zero 0
		.amdhsa_exception_fp_ieee_overflow 0
		.amdhsa_exception_fp_ieee_underflow 0
		.amdhsa_exception_fp_ieee_inexact 0
		.amdhsa_exception_int_div_zero 0
	.end_amdhsa_kernel
	.section	.text._ZN4vllm42fused_add_rms_norm_static_fp8_quant_kernelIfLi0EN3c1015Float8_e4m3fnuzEEENSt9enable_ifIXooeqT0_Li0Entsr12_typeConvertIT_EE6existsEvE4typeEPT1_PS4_iS9_PKS4_PKffii,"axG",@progbits,_ZN4vllm42fused_add_rms_norm_static_fp8_quant_kernelIfLi0EN3c1015Float8_e4m3fnuzEEENSt9enable_ifIXooeqT0_Li0Entsr12_typeConvertIT_EE6existsEvE4typeEPT1_PS4_iS9_PKS4_PKffii,comdat
.Lfunc_end13:
	.size	_ZN4vllm42fused_add_rms_norm_static_fp8_quant_kernelIfLi0EN3c1015Float8_e4m3fnuzEEENSt9enable_ifIXooeqT0_Li0Entsr12_typeConvertIT_EE6existsEvE4typeEPT1_PS4_iS9_PKS4_PKffii, .Lfunc_end13-_ZN4vllm42fused_add_rms_norm_static_fp8_quant_kernelIfLi0EN3c1015Float8_e4m3fnuzEEENSt9enable_ifIXooeqT0_Li0Entsr12_typeConvertIT_EE6existsEvE4typeEPT1_PS4_iS9_PKS4_PKffii
                                        ; -- End function
	.set _ZN4vllm42fused_add_rms_norm_static_fp8_quant_kernelIfLi0EN3c1015Float8_e4m3fnuzEEENSt9enable_ifIXooeqT0_Li0Entsr12_typeConvertIT_EE6existsEvE4typeEPT1_PS4_iS9_PKS4_PKffii.num_vgpr, 17
	.set _ZN4vllm42fused_add_rms_norm_static_fp8_quant_kernelIfLi0EN3c1015Float8_e4m3fnuzEEENSt9enable_ifIXooeqT0_Li0Entsr12_typeConvertIT_EE6existsEvE4typeEPT1_PS4_iS9_PKS4_PKffii.num_agpr, 0
	.set _ZN4vllm42fused_add_rms_norm_static_fp8_quant_kernelIfLi0EN3c1015Float8_e4m3fnuzEEENSt9enable_ifIXooeqT0_Li0Entsr12_typeConvertIT_EE6existsEvE4typeEPT1_PS4_iS9_PKS4_PKffii.numbered_sgpr, 19
	.set _ZN4vllm42fused_add_rms_norm_static_fp8_quant_kernelIfLi0EN3c1015Float8_e4m3fnuzEEENSt9enable_ifIXooeqT0_Li0Entsr12_typeConvertIT_EE6existsEvE4typeEPT1_PS4_iS9_PKS4_PKffii.num_named_barrier, 0
	.set _ZN4vllm42fused_add_rms_norm_static_fp8_quant_kernelIfLi0EN3c1015Float8_e4m3fnuzEEENSt9enable_ifIXooeqT0_Li0Entsr12_typeConvertIT_EE6existsEvE4typeEPT1_PS4_iS9_PKS4_PKffii.private_seg_size, 0
	.set _ZN4vllm42fused_add_rms_norm_static_fp8_quant_kernelIfLi0EN3c1015Float8_e4m3fnuzEEENSt9enable_ifIXooeqT0_Li0Entsr12_typeConvertIT_EE6existsEvE4typeEPT1_PS4_iS9_PKS4_PKffii.uses_vcc, 1
	.set _ZN4vllm42fused_add_rms_norm_static_fp8_quant_kernelIfLi0EN3c1015Float8_e4m3fnuzEEENSt9enable_ifIXooeqT0_Li0Entsr12_typeConvertIT_EE6existsEvE4typeEPT1_PS4_iS9_PKS4_PKffii.uses_flat_scratch, 0
	.set _ZN4vllm42fused_add_rms_norm_static_fp8_quant_kernelIfLi0EN3c1015Float8_e4m3fnuzEEENSt9enable_ifIXooeqT0_Li0Entsr12_typeConvertIT_EE6existsEvE4typeEPT1_PS4_iS9_PKS4_PKffii.has_dyn_sized_stack, 0
	.set _ZN4vllm42fused_add_rms_norm_static_fp8_quant_kernelIfLi0EN3c1015Float8_e4m3fnuzEEENSt9enable_ifIXooeqT0_Li0Entsr12_typeConvertIT_EE6existsEvE4typeEPT1_PS4_iS9_PKS4_PKffii.has_recursion, 0
	.set _ZN4vllm42fused_add_rms_norm_static_fp8_quant_kernelIfLi0EN3c1015Float8_e4m3fnuzEEENSt9enable_ifIXooeqT0_Li0Entsr12_typeConvertIT_EE6existsEvE4typeEPT1_PS4_iS9_PKS4_PKffii.has_indirect_call, 0
	.section	.AMDGPU.csdata,"",@progbits
; Kernel info:
; codeLenInByte = 2028
; TotalNumSgprs: 21
; NumVgprs: 17
; ScratchSize: 0
; MemoryBound: 0
; FloatMode: 240
; IeeeMode: 1
; LDSByteSize: 68 bytes/workgroup (compile time only)
; SGPRBlocks: 0
; VGPRBlocks: 1
; NumSGPRsForWavesPerEU: 21
; NumVGPRsForWavesPerEU: 17
; NamedBarCnt: 0
; Occupancy: 16
; WaveLimiterHint : 0
; COMPUTE_PGM_RSRC2:SCRATCH_EN: 0
; COMPUTE_PGM_RSRC2:USER_SGPR: 2
; COMPUTE_PGM_RSRC2:TRAP_HANDLER: 0
; COMPUTE_PGM_RSRC2:TGID_X_EN: 1
; COMPUTE_PGM_RSRC2:TGID_Y_EN: 0
; COMPUTE_PGM_RSRC2:TGID_Z_EN: 0
; COMPUTE_PGM_RSRC2:TIDIG_COMP_CNT: 0
	.section	.text._ZN4vllm42fused_add_rms_norm_static_fp8_quant_kernelIN3c104HalfELi0ENS1_13Float8_e4m3fnEEENSt9enable_ifIXooeqT0_Li0Entsr12_typeConvertIT_EE6existsEvE4typeEPT1_PS5_iSA_PKS5_PKffii,"axG",@progbits,_ZN4vllm42fused_add_rms_norm_static_fp8_quant_kernelIN3c104HalfELi0ENS1_13Float8_e4m3fnEEENSt9enable_ifIXooeqT0_Li0Entsr12_typeConvertIT_EE6existsEvE4typeEPT1_PS5_iSA_PKS5_PKffii,comdat
	.protected	_ZN4vllm42fused_add_rms_norm_static_fp8_quant_kernelIN3c104HalfELi0ENS1_13Float8_e4m3fnEEENSt9enable_ifIXooeqT0_Li0Entsr12_typeConvertIT_EE6existsEvE4typeEPT1_PS5_iSA_PKS5_PKffii ; -- Begin function _ZN4vllm42fused_add_rms_norm_static_fp8_quant_kernelIN3c104HalfELi0ENS1_13Float8_e4m3fnEEENSt9enable_ifIXooeqT0_Li0Entsr12_typeConvertIT_EE6existsEvE4typeEPT1_PS5_iSA_PKS5_PKffii
	.globl	_ZN4vllm42fused_add_rms_norm_static_fp8_quant_kernelIN3c104HalfELi0ENS1_13Float8_e4m3fnEEENSt9enable_ifIXooeqT0_Li0Entsr12_typeConvertIT_EE6existsEvE4typeEPT1_PS5_iSA_PKS5_PKffii
	.p2align	8
	.type	_ZN4vllm42fused_add_rms_norm_static_fp8_quant_kernelIN3c104HalfELi0ENS1_13Float8_e4m3fnEEENSt9enable_ifIXooeqT0_Li0Entsr12_typeConvertIT_EE6existsEvE4typeEPT1_PS5_iSA_PKS5_PKffii,@function
_ZN4vllm42fused_add_rms_norm_static_fp8_quant_kernelIN3c104HalfELi0ENS1_13Float8_e4m3fnEEENSt9enable_ifIXooeqT0_Li0Entsr12_typeConvertIT_EE6existsEvE4typeEPT1_PS5_iSA_PKS5_PKffii: ; @_ZN4vllm42fused_add_rms_norm_static_fp8_quant_kernelIN3c104HalfELi0ENS1_13Float8_e4m3fnEEENSt9enable_ifIXooeqT0_Li0Entsr12_typeConvertIT_EE6existsEvE4typeEPT1_PS5_iSA_PKS5_PKffii
; %bb.0:
	s_clause 0x1
	s_load_b32 s11, s[0:1], 0x38
	s_load_b64 s[12:13], s[0:1], 0x18
	s_getreg_b32 s14, hwreg(HW_REG_IB_STS2, 6, 4)
	s_mov_b32 s3, exec_lo
                                        ; implicit-def: $sgpr8
                                        ; implicit-def: $sgpr9
	s_wait_kmcnt 0x0
	v_cmp_gt_i32_e64 s2, s11, v0
	v_cmpx_le_i32_e64 s11, v0
	s_xor_b32 s3, exec_lo, s3
	s_cbranch_execz .LBB14_2
; %bb.1:
	s_load_b32 s4, s[0:1], 0x4c
	s_bfe_u32 s5, ttmp6, 0x4000c
	s_and_b32 s6, ttmp6, 15
	s_add_co_i32 s5, s5, 1
	s_delay_alu instid0(SALU_CYCLE_1) | instskip(NEXT) | instid1(SALU_CYCLE_1)
	s_mul_i32 s5, ttmp9, s5
	s_add_co_i32 s6, s6, s5
	s_cmp_eq_u32 s14, 0
	s_cselect_b32 s8, ttmp9, s6
	s_wait_kmcnt 0x0
	s_and_b32 s9, s4, 0xffff
.LBB14_2:
	s_or_saveexec_b32 s3, s3
	s_load_b128 s[4:7], s[0:1], 0x20
	v_dual_mov_b32 v4, 0 :: v_dual_mov_b32 v2, s8
	v_mov_b32_e32 v1, s9
	s_xor_b32 exec_lo, exec_lo, s3
	s_cbranch_execz .LBB14_6
; %bb.3:
	s_clause 0x1
	s_load_b96 s[8:10], s[0:1], 0x8
	s_load_b32 s18, s[0:1], 0x4c
	s_bfe_u32 s15, ttmp6, 0x4000c
	s_and_b32 s16, ttmp6, 15
	s_add_co_i32 s15, s15, 1
	v_dual_mov_b32 v4, 0 :: v_dual_mov_b32 v1, v0
	s_mul_i32 s17, ttmp9, s15
	s_mov_b32 s15, 0
	s_add_co_i32 s16, s16, s17
	s_cmp_eq_u32 s14, 0
	s_cselect_b32 s14, ttmp9, s16
	s_delay_alu instid0(SALU_CYCLE_1)
	s_mul_i32 s16, s11, s14
	s_wait_kmcnt 0x0
	s_mul_i32 s17, s10, s14
	s_and_b32 s10, s18, 0xffff
.LBB14_4:                               ; =>This Inner Loop Header: Depth=1
	v_dual_add_nc_u32 v2, s17, v1 :: v_dual_add_nc_u32 v3, s16, v1
	v_add_nc_u32_e32 v1, s10, v1
	global_load_u16 v5, v2, s[8:9] scale_offset
	global_load_u16 v6, v3, s[12:13] scale_offset
	v_cmp_le_i32_e32 vcc_lo, s11, v1
	s_or_b32 s15, vcc_lo, s15
	s_wait_loadcnt 0x0
	s_wait_xcnt 0x1
	v_add_f16_e32 v2, v5, v6
	s_delay_alu instid0(VALU_DEP_1)
	v_fma_mix_f32 v4, v2, v2, v4 op_sel_hi:[1,1,0]
	global_store_b16 v3, v2, s[12:13] scale_offset
	s_wait_xcnt 0x0
	s_and_not1_b32 exec_lo, exec_lo, s15
	s_cbranch_execnz .LBB14_4
; %bb.5:
	s_or_b32 exec_lo, exec_lo, s15
	v_dual_mov_b32 v2, s14 :: v_dual_mov_b32 v1, s10
.LBB14_6:
	s_or_b32 exec_lo, exec_lo, s3
	v_mbcnt_lo_u32_b32 v3, -1, 0
	v_and_b32_e32 v6, 0x3c0, v0
	s_load_b64 s[8:9], s[0:1], 0x0
	s_mov_b32 s3, exec_lo
	s_delay_alu instid0(VALU_DEP_2) | instskip(NEXT) | instid1(VALU_DEP_2)
	v_cmp_ne_u32_e32 vcc_lo, 63, v3
	v_sub_nc_u32_e64 v6, v1, v6 clamp
	v_add_nc_u32_e32 v8, 1, v3
	v_add_co_ci_u32_e64 v5, null, 0, v3, vcc_lo
	v_cmp_gt_u32_e32 vcc_lo, 62, v3
	s_delay_alu instid0(VALU_DEP_2)
	v_lshlrev_b32_e32 v5, 2, v5
	v_cndmask_b32_e64 v7, 0, 2, vcc_lo
	v_cmp_lt_u32_e32 vcc_lo, v8, v6
	v_add_nc_u32_e32 v8, 2, v3
	ds_bpermute_b32 v5, v5, v4
	v_add_lshl_u32 v7, v7, v3, 2
	s_wait_dscnt 0x0
	v_add_f32_e32 v5, v4, v5
	s_delay_alu instid0(VALU_DEP_1)
	v_cndmask_b32_e32 v4, v4, v5, vcc_lo
	v_cmp_gt_u32_e32 vcc_lo, 60, v3
	ds_bpermute_b32 v5, v7, v4
	v_cndmask_b32_e64 v7, 0, 4, vcc_lo
	v_cmp_lt_u32_e32 vcc_lo, v8, v6
	v_add_nc_u32_e32 v8, 4, v3
	s_delay_alu instid0(VALU_DEP_3) | instskip(SKIP_2) | instid1(VALU_DEP_1)
	v_add_lshl_u32 v7, v7, v3, 2
	s_wait_dscnt 0x0
	v_add_f32_e32 v5, v4, v5
	v_cndmask_b32_e32 v4, v4, v5, vcc_lo
	v_cmp_gt_u32_e32 vcc_lo, 56, v3
	ds_bpermute_b32 v5, v7, v4
	v_cndmask_b32_e64 v7, 0, 8, vcc_lo
	v_cmp_lt_u32_e32 vcc_lo, v8, v6
	v_add_nc_u32_e32 v8, 8, v3
	s_delay_alu instid0(VALU_DEP_3) | instskip(SKIP_2) | instid1(VALU_DEP_1)
	v_add_lshl_u32 v7, v7, v3, 2
	s_wait_dscnt 0x0
	v_add_f32_e32 v5, v4, v5
	v_cndmask_b32_e32 v4, v4, v5, vcc_lo
	v_cmp_gt_u32_e32 vcc_lo, 48, v3
	ds_bpermute_b32 v5, v7, v4
	v_cndmask_b32_e64 v7, 0, 16, vcc_lo
	v_cmp_lt_u32_e32 vcc_lo, v8, v6
	s_delay_alu instid0(VALU_DEP_2) | instskip(SKIP_2) | instid1(VALU_DEP_1)
	v_add_lshl_u32 v7, v7, v3, 2
	s_wait_dscnt 0x0
	v_add_f32_e32 v5, v4, v5
	v_cndmask_b32_e32 v5, v4, v5, vcc_lo
	ds_bpermute_b32 v4, v7, v5
	v_add_nc_u32_e32 v7, 16, v3
	s_delay_alu instid0(VALU_DEP_1) | instskip(SKIP_2) | instid1(VALU_DEP_1)
	v_cmp_lt_u32_e32 vcc_lo, v7, v6
	s_wait_dscnt 0x0
	v_dual_add_f32 v8, v5, v4 :: v_dual_lshlrev_b32 v4, 2, v3
	v_dual_cndmask_b32 v5, v5, v8, vcc_lo :: v_dual_bitop2_b32 v8, 32, v3 bitop3:0x54
	ds_bpermute_b32 v7, v4, v5 offset:128
	v_cmp_lt_u32_e32 vcc_lo, v8, v6
	s_wait_dscnt 0x0
	v_add_f32_e32 v7, v5, v7
	s_delay_alu instid0(VALU_DEP_1)
	v_cndmask_b32_e32 v5, v5, v7, vcc_lo
	v_cmpx_eq_u32_e32 0, v3
; %bb.7:
	v_lshrrev_b32_e32 v6, 4, v0
	s_delay_alu instid0(VALU_DEP_1)
	v_and_b32_e32 v6, 60, v6
	ds_store_b32 v6, v5
; %bb.8:
	s_or_b32 exec_lo, exec_lo, s3
	s_delay_alu instid0(SALU_CYCLE_1)
	s_mov_b32 s10, exec_lo
	s_wait_storecnt_dscnt 0x0
	s_barrier_signal -1
	s_barrier_wait -1
	v_cmpx_gt_u32_e32 16, v0
	s_cbranch_execz .LBB14_10
; %bb.9:
	ds_load_b32 v5, v4
	v_dual_add_nc_u32 v8, 63, v1 :: v_dual_bitop2_b32 v6, 15, v3 bitop3:0x40
	v_or_b32_e32 v4, 32, v4
	s_delay_alu instid0(VALU_DEP_2) | instskip(NEXT) | instid1(VALU_DEP_3)
	v_cmp_ne_u32_e32 vcc_lo, 15, v6
	v_dual_lshrrev_b32 v8, 6, v8 :: v_dual_add_nc_u32 v11, 2, v6
	v_cmp_gt_u32_e64 s3, 12, v6
	v_add_co_ci_u32_e64 v7, null, 0, v3, vcc_lo
	v_cmp_gt_u32_e32 vcc_lo, 14, v6
	s_delay_alu instid0(VALU_DEP_2)
	v_lshlrev_b32_e32 v7, 2, v7
	v_cndmask_b32_e64 v9, 0, 2, vcc_lo
	s_wait_dscnt 0x0
	ds_bpermute_b32 v7, v7, v5
	v_add_nc_u32_e32 v10, 1, v6
	v_add_lshl_u32 v9, v9, v3, 2
	s_wait_dscnt 0x0
	v_add_f32_e32 v7, v5, v7
	s_delay_alu instid0(VALU_DEP_3) | instskip(SKIP_2) | instid1(VALU_DEP_4)
	v_cmp_lt_u32_e32 vcc_lo, v10, v8
	v_cndmask_b32_e64 v10, 0, 4, s3
	v_cmp_lt_u32_e64 s3, v11, v8
	v_cndmask_b32_e32 v7, v5, v7, vcc_lo
	s_delay_alu instid0(VALU_DEP_3) | instskip(SKIP_3) | instid1(VALU_DEP_1)
	v_add_lshl_u32 v3, v10, v3, 2
	ds_bpermute_b32 v9, v9, v7
	s_wait_dscnt 0x0
	v_add_f32_e32 v9, v7, v9
	v_dual_cndmask_b32 v7, v7, v9, s3 :: v_dual_add_nc_u32 v9, 4, v6
	ds_bpermute_b32 v3, v3, v7
	v_cmp_lt_u32_e64 s3, v9, v8
	s_wait_dscnt 0x0
	v_add_f32_e32 v3, v7, v3
	s_delay_alu instid0(VALU_DEP_1) | instskip(SKIP_3) | instid1(VALU_DEP_1)
	v_cndmask_b32_e64 v3, v7, v3, s3
	ds_bpermute_b32 v4, v4, v3
	s_wait_dscnt 0x0
	v_dual_add_nc_u32 v6, 8, v6 :: v_dual_add_f32 v4, v3, v4
	v_cmp_lt_u32_e64 s3, v6, v8
	s_delay_alu instid0(VALU_DEP_1) | instskip(NEXT) | instid1(VALU_DEP_1)
	v_cndmask_b32_e64 v3, v3, v4, s3
	v_cndmask_b32_e32 v5, v5, v3, vcc_lo
.LBB14_10:
	s_or_b32 exec_lo, exec_lo, s10
	s_delay_alu instid0(SALU_CYCLE_1)
	s_mov_b32 s3, exec_lo
	v_cmpx_eq_u32_e32 0, v0
	s_cbranch_execz .LBB14_12
; %bb.11:
	s_cvt_f32_i32 s10, s11
	s_wait_xcnt 0x0
	s_load_b32 s0, s[0:1], 0x30
	s_delay_alu instid0(SALU_CYCLE_1) | instskip(SKIP_1) | instid1(VALU_DEP_2)
	v_div_scale_f32 v3, null, s10, s10, v5
	v_div_scale_f32 v7, vcc_lo, v5, s10, v5
	v_rcp_f32_e32 v4, v3
	v_nop
	s_delay_alu instid0(TRANS32_DEP_1) | instskip(NEXT) | instid1(VALU_DEP_1)
	v_fma_f32 v6, -v3, v4, 1.0
	v_fmac_f32_e32 v4, v6, v4
	s_delay_alu instid0(VALU_DEP_1) | instskip(NEXT) | instid1(VALU_DEP_1)
	v_mul_f32_e32 v6, v7, v4
	v_fma_f32 v8, -v3, v6, v7
	s_delay_alu instid0(VALU_DEP_1) | instskip(NEXT) | instid1(VALU_DEP_1)
	v_fmac_f32_e32 v6, v8, v4
	v_fma_f32 v3, -v3, v6, v7
	s_delay_alu instid0(VALU_DEP_1) | instskip(NEXT) | instid1(VALU_DEP_1)
	v_div_fmas_f32 v3, v3, v4, v6
	v_div_fixup_f32 v3, v3, s10, v5
	s_wait_kmcnt 0x0
	s_delay_alu instid0(VALU_DEP_1) | instskip(NEXT) | instid1(VALU_DEP_1)
	v_add_f32_e32 v3, s0, v3
	v_mul_f32_e32 v4, 0x4b800000, v3
	v_cmp_gt_f32_e32 vcc_lo, 0x800000, v3
	s_delay_alu instid0(VALU_DEP_2) | instskip(NEXT) | instid1(VALU_DEP_1)
	v_cndmask_b32_e32 v3, v3, v4, vcc_lo
	v_rsq_f32_e32 v3, v3
	v_nop
	s_delay_alu instid0(TRANS32_DEP_1) | instskip(NEXT) | instid1(VALU_DEP_1)
	v_mul_f32_e32 v4, 0x45800000, v3
	v_dual_cndmask_b32 v3, v3, v4 :: v_dual_mov_b32 v4, 0
	ds_store_b32 v4, v3 offset:64
.LBB14_12:
	s_or_b32 exec_lo, exec_lo, s3
	s_wait_dscnt 0x0
	s_barrier_signal -1
	s_barrier_wait -1
	s_wait_xcnt 0x0
	s_and_saveexec_b32 s0, s2
	s_cbranch_execz .LBB14_33
; %bb.13:
	s_wait_kmcnt 0x0
	s_load_b32 s0, s[6:7], 0x0
	v_mul_lo_u32 v9, s11, v2
	s_mov_b32 s2, 0
	s_mov_b32 s3, 0x43e00000
	s_wait_kmcnt 0x0
	v_div_scale_f32 v3, null, s0, s0, 1.0
	v_div_scale_f32 v6, vcc_lo, 1.0, s0, 1.0
	s_delay_alu instid0(VALU_DEP_2)
	v_rcp_f32_e32 v4, v3
	v_xor_b32_e32 v5, 0x80000000, v3
	s_delay_alu instid0(TRANS32_DEP_1) | instid1(VALU_DEP_1)
	v_fma_f32 v3, v5, v4, 1.0
	s_delay_alu instid0(VALU_DEP_1) | instskip(NEXT) | instid1(VALU_DEP_1)
	v_dual_fmac_f32 v4, v3, v4 :: v_dual_mov_b32 v3, 0
	v_mul_f32_e32 v7, v6, v4
	s_delay_alu instid0(VALU_DEP_1) | instskip(NEXT) | instid1(VALU_DEP_1)
	v_fma_f32 v8, v5, v7, v6
	v_fmac_f32_e32 v7, v8, v4
	ds_load_b32 v8, v3 offset:64
	v_fmac_f32_e32 v6, v5, v7
	s_delay_alu instid0(VALU_DEP_1) | instskip(NEXT) | instid1(VALU_DEP_1)
	v_div_fmas_f32 v2, v6, v4, v7
	v_div_fixup_f32 v10, v2, s0, 1.0
	s_branch .LBB14_15
.LBB14_14:                              ;   in Loop: Header=BB14_15 Depth=1
	s_or_b32 exec_lo, exec_lo, s0
	v_dual_mov_b32 v5, v3 :: v_dual_add_nc_u32 v0, v0, v1
	s_delay_alu instid0(VALU_DEP_1) | instskip(NEXT) | instid1(VALU_DEP_2)
	v_add_nc_u64_e32 v[4:5], s[8:9], v[4:5]
	v_cmp_le_i32_e32 vcc_lo, s11, v0
	s_or_b32 s2, vcc_lo, s2
	global_store_b8 v[4:5], v2, off
	s_wait_xcnt 0x0
	s_and_not1_b32 exec_lo, exec_lo, s2
	s_cbranch_execz .LBB14_33
.LBB14_15:                              ; =>This Inner Loop Header: Depth=1
	v_add_nc_u32_e32 v4, v9, v0
	global_load_u16 v2, v4, s[12:13] scale_offset
	global_load_u16 v5, v0, s[4:5] scale_offset
	s_wait_loadcnt_dscnt 0x100
	v_fma_mixlo_f16 v2, v8, v2, 0 op_sel_hi:[0,1,0]
	s_wait_loadcnt 0x0
	s_delay_alu instid0(VALU_DEP_1) | instskip(NEXT) | instid1(VALU_DEP_1)
	v_mul_f16_e32 v2, v5, v2
	v_cvt_f32_f16_e32 v2, v2
	s_delay_alu instid0(VALU_DEP_1) | instskip(NEXT) | instid1(VALU_DEP_1)
	v_mul_f32_e32 v2, v10, v2
	v_minmax_num_f32 v6, v2, s3, 0xc3e00000
	s_delay_alu instid0(VALU_DEP_1) | instskip(SKIP_1) | instid1(VALU_DEP_2)
	v_and_b32_e32 v2, 0x7f800000, v6
	v_lshrrev_b32_e32 v5, 24, v6
	v_cmp_ne_u64_e32 vcc_lo, 0x7f800000, v[2:3]
                                        ; implicit-def: $vgpr2
	s_wait_xcnt 0x0
	s_and_saveexec_b32 s0, vcc_lo
	s_delay_alu instid0(SALU_CYCLE_1)
	s_xor_b32 s6, exec_lo, s0
	s_cbranch_execz .LBB14_31
; %bb.16:                               ;   in Loop: Header=BB14_15 Depth=1
	v_and_b32_e32 v2, 0x7fffffff, v6
	v_and_b32_e32 v5, 0x80, v5
	s_delay_alu instid0(VALU_DEP_2) | instskip(SKIP_1) | instid1(SALU_CYCLE_1)
	v_cmp_gt_u64_e32 vcc_lo, 0x43e00001, v[2:3]
                                        ; implicit-def: $vgpr2
	s_and_saveexec_b32 s0, vcc_lo
	s_xor_b32 s7, exec_lo, s0
	s_cbranch_execz .LBB14_28
; %bb.17:                               ;   in Loop: Header=BB14_15 Depth=1
	v_mov_b32_e32 v2, 0
	s_mov_b32 s10, exec_lo
	v_cmpx_ne_u32_e32 0, v6
	s_cbranch_execz .LBB14_27
; %bb.18:                               ;   in Loop: Header=BB14_15 Depth=1
	v_bfe_u32 v11, v6, 23, 8
	v_and_b32_e32 v6, 0x7fffff, v6
	s_delay_alu instid0(VALU_DEP_2) | instskip(SKIP_2) | instid1(VALU_DEP_3)
	v_sub_nc_u32_e64 v2, 0x79, v11 clamp
	v_cmp_eq_u32_e32 vcc_lo, 0, v11
	v_add_nc_u32_e32 v11, 0xffffff88, v11
	v_cndmask_b32_e64 v16, v2, 0x78, vcc_lo
	v_or_b32_e32 v2, 0x800000, v6
	s_delay_alu instid0(VALU_DEP_1) | instskip(NEXT) | instid1(VALU_DEP_1)
	v_dual_cndmask_b32 v2, v2, v6 :: v_dual_add_nc_u32 v7, 20, v16
	v_lshlrev_b64_e64 v[6:7], v7, -1
	s_delay_alu instid0(VALU_DEP_2) | instskip(SKIP_1) | instid1(VALU_DEP_1)
	v_lshrrev_b64 v[14:15], v16, v[2:3]
	v_add_nc_u32_e32 v12, 19, v16
	v_lshlrev_b64_e64 v[12:13], v12, 1
	s_delay_alu instid0(VALU_DEP_4) | instskip(SKIP_2) | instid1(VALU_DEP_2)
	v_bfi_b32 v7, v7, 0, 0
	v_bfi_b32 v6, v6, 0, v2
	v_and_b32_e32 v2, 0x100000, v14
	v_cmp_eq_u64_e64 s0, v[6:7], v[12:13]
	s_delay_alu instid0(VALU_DEP_2) | instskip(SKIP_3) | instid1(VALU_DEP_1)
	v_cmp_eq_u64_e64 s1, 0, v[2:3]
	v_cndmask_b32_e64 v2, v11, 0xffffff89, vcc_lo
	v_lshrrev_b32_e32 v6, 23, v14
                                        ; implicit-def: $vgpr11
	s_and_b32 vcc_lo, s1, s0
	v_add3_u32 v12, v2, v16, v6
	v_subrev_co_ci_u32_e64 v7, null, 0, v14, vcc_lo
	s_mov_b32 s0, exec_lo
	v_and_b32_e32 v2, 0xfffff, v7
	v_add_nc_u32_e32 v13, -1, v12
                                        ; implicit-def: $vgpr6_vgpr7
	s_delay_alu instid0(VALU_DEP_2) | instskip(NEXT) | instid1(VALU_DEP_2)
	v_add_nc_u32_e32 v2, v2, v14
	v_cmpx_ne_u32_e32 0, v13
	s_xor_b32 s0, exec_lo, s0
	s_cbranch_execz .LBB14_20
; %bb.19:                               ;   in Loop: Header=BB14_15 Depth=1
	s_delay_alu instid0(VALU_DEP_2) | instskip(SKIP_2) | instid1(VALU_DEP_2)
	v_and_b32_e32 v14, 0x1000000, v2
	v_mov_b32_e32 v15, v3
	v_bfe_u32 v6, v2, 24, 1
	v_cmp_eq_u64_e32 vcc_lo, 0, v[14:15]
	s_delay_alu instid0(VALU_DEP_2)
	v_lshrrev_b64 v[6:7], v6, v[2:3]
	v_cndmask_b32_e32 v11, v12, v13, vcc_lo
.LBB14_20:                              ;   in Loop: Header=BB14_15 Depth=1
	s_and_not1_saveexec_b32 s0, s0
; %bb.21:                               ;   in Loop: Header=BB14_15 Depth=1
	v_mov_b64_e32 v[6:7], v[2:3]
	v_bfe_u32 v11, v2, 23, 1
; %bb.22:                               ;   in Loop: Header=BB14_15 Depth=1
	s_or_b32 exec_lo, exec_lo, s0
	s_delay_alu instid0(VALU_DEP_2) | instskip(NEXT) | instid1(VALU_DEP_2)
	v_lshrrev_b64 v[6:7], 20, v[6:7]
	v_cmp_gt_i32_e32 vcc_lo, 16, v11
	v_cmp_ne_u32_e64 s0, 0, v11
                                        ; implicit-def: $vgpr2
	s_delay_alu instid0(VALU_DEP_3) | instskip(NEXT) | instid1(VALU_DEP_1)
	v_dual_cndmask_b32 v7, 0, v7 :: v_dual_cndmask_b32 v6, 7, v6
	v_cmp_ne_u64_e32 vcc_lo, 0, v[6:7]
	s_or_b32 s0, s0, vcc_lo
	s_delay_alu instid0(SALU_CYCLE_1) | instskip(NEXT) | instid1(SALU_CYCLE_1)
	s_and_saveexec_b32 s1, s0
	s_xor_b32 s0, exec_lo, s1
; %bb.23:                               ;   in Loop: Header=BB14_15 Depth=1
	v_min_i32_e32 v2, 15, v11
	s_delay_alu instid0(VALU_DEP_1) | instskip(NEXT) | instid1(VALU_DEP_1)
	v_lshl_or_b32 v2, v2, 3, v5
                                        ; implicit-def: $vgpr5
	v_and_or_b32 v2, v6, 7, v2
; %bb.24:                               ;   in Loop: Header=BB14_15 Depth=1
	s_and_not1_saveexec_b32 s0, s0
; %bb.25:                               ;   in Loop: Header=BB14_15 Depth=1
	v_mov_b32_e32 v2, v5
; %bb.26:                               ;   in Loop: Header=BB14_15 Depth=1
	s_or_b32 exec_lo, exec_lo, s0
.LBB14_27:                              ;   in Loop: Header=BB14_15 Depth=1
	s_delay_alu instid0(SALU_CYCLE_1)
	s_or_b32 exec_lo, exec_lo, s10
                                        ; implicit-def: $vgpr5
.LBB14_28:                              ;   in Loop: Header=BB14_15 Depth=1
	s_and_not1_saveexec_b32 s0, s7
; %bb.29:                               ;   in Loop: Header=BB14_15 Depth=1
	v_or_b32_e32 v2, 0x7e, v5
; %bb.30:                               ;   in Loop: Header=BB14_15 Depth=1
	s_or_b32 exec_lo, exec_lo, s0
                                        ; implicit-def: $vgpr5
.LBB14_31:                              ;   in Loop: Header=BB14_15 Depth=1
	s_and_not1_saveexec_b32 s0, s6
	s_cbranch_execz .LBB14_14
; %bb.32:                               ;   in Loop: Header=BB14_15 Depth=1
	v_or_b32_e32 v2, 0x7f, v5
	s_branch .LBB14_14
.LBB14_33:
	s_endpgm
	.section	.rodata,"a",@progbits
	.p2align	6, 0x0
	.amdhsa_kernel _ZN4vllm42fused_add_rms_norm_static_fp8_quant_kernelIN3c104HalfELi0ENS1_13Float8_e4m3fnEEENSt9enable_ifIXooeqT0_Li0Entsr12_typeConvertIT_EE6existsEvE4typeEPT1_PS5_iSA_PKS5_PKffii
		.amdhsa_group_segment_fixed_size 68
		.amdhsa_private_segment_fixed_size 0
		.amdhsa_kernarg_size 320
		.amdhsa_user_sgpr_count 2
		.amdhsa_user_sgpr_dispatch_ptr 0
		.amdhsa_user_sgpr_queue_ptr 0
		.amdhsa_user_sgpr_kernarg_segment_ptr 1
		.amdhsa_user_sgpr_dispatch_id 0
		.amdhsa_user_sgpr_kernarg_preload_length 0
		.amdhsa_user_sgpr_kernarg_preload_offset 0
		.amdhsa_user_sgpr_private_segment_size 0
		.amdhsa_wavefront_size32 1
		.amdhsa_uses_dynamic_stack 0
		.amdhsa_enable_private_segment 0
		.amdhsa_system_sgpr_workgroup_id_x 1
		.amdhsa_system_sgpr_workgroup_id_y 0
		.amdhsa_system_sgpr_workgroup_id_z 0
		.amdhsa_system_sgpr_workgroup_info 0
		.amdhsa_system_vgpr_workitem_id 0
		.amdhsa_next_free_vgpr 17
		.amdhsa_next_free_sgpr 19
		.amdhsa_named_barrier_count 0
		.amdhsa_reserve_vcc 1
		.amdhsa_float_round_mode_32 0
		.amdhsa_float_round_mode_16_64 0
		.amdhsa_float_denorm_mode_32 3
		.amdhsa_float_denorm_mode_16_64 3
		.amdhsa_fp16_overflow 0
		.amdhsa_memory_ordered 1
		.amdhsa_forward_progress 1
		.amdhsa_inst_pref_size 17
		.amdhsa_round_robin_scheduling 0
		.amdhsa_exception_fp_ieee_invalid_op 0
		.amdhsa_exception_fp_denorm_src 0
		.amdhsa_exception_fp_ieee_div_zero 0
		.amdhsa_exception_fp_ieee_overflow 0
		.amdhsa_exception_fp_ieee_underflow 0
		.amdhsa_exception_fp_ieee_inexact 0
		.amdhsa_exception_int_div_zero 0
	.end_amdhsa_kernel
	.section	.text._ZN4vllm42fused_add_rms_norm_static_fp8_quant_kernelIN3c104HalfELi0ENS1_13Float8_e4m3fnEEENSt9enable_ifIXooeqT0_Li0Entsr12_typeConvertIT_EE6existsEvE4typeEPT1_PS5_iSA_PKS5_PKffii,"axG",@progbits,_ZN4vllm42fused_add_rms_norm_static_fp8_quant_kernelIN3c104HalfELi0ENS1_13Float8_e4m3fnEEENSt9enable_ifIXooeqT0_Li0Entsr12_typeConvertIT_EE6existsEvE4typeEPT1_PS5_iSA_PKS5_PKffii,comdat
.Lfunc_end14:
	.size	_ZN4vllm42fused_add_rms_norm_static_fp8_quant_kernelIN3c104HalfELi0ENS1_13Float8_e4m3fnEEENSt9enable_ifIXooeqT0_Li0Entsr12_typeConvertIT_EE6existsEvE4typeEPT1_PS5_iSA_PKS5_PKffii, .Lfunc_end14-_ZN4vllm42fused_add_rms_norm_static_fp8_quant_kernelIN3c104HalfELi0ENS1_13Float8_e4m3fnEEENSt9enable_ifIXooeqT0_Li0Entsr12_typeConvertIT_EE6existsEvE4typeEPT1_PS5_iSA_PKS5_PKffii
                                        ; -- End function
	.set _ZN4vllm42fused_add_rms_norm_static_fp8_quant_kernelIN3c104HalfELi0ENS1_13Float8_e4m3fnEEENSt9enable_ifIXooeqT0_Li0Entsr12_typeConvertIT_EE6existsEvE4typeEPT1_PS5_iSA_PKS5_PKffii.num_vgpr, 17
	.set _ZN4vllm42fused_add_rms_norm_static_fp8_quant_kernelIN3c104HalfELi0ENS1_13Float8_e4m3fnEEENSt9enable_ifIXooeqT0_Li0Entsr12_typeConvertIT_EE6existsEvE4typeEPT1_PS5_iSA_PKS5_PKffii.num_agpr, 0
	.set _ZN4vllm42fused_add_rms_norm_static_fp8_quant_kernelIN3c104HalfELi0ENS1_13Float8_e4m3fnEEENSt9enable_ifIXooeqT0_Li0Entsr12_typeConvertIT_EE6existsEvE4typeEPT1_PS5_iSA_PKS5_PKffii.numbered_sgpr, 19
	.set _ZN4vllm42fused_add_rms_norm_static_fp8_quant_kernelIN3c104HalfELi0ENS1_13Float8_e4m3fnEEENSt9enable_ifIXooeqT0_Li0Entsr12_typeConvertIT_EE6existsEvE4typeEPT1_PS5_iSA_PKS5_PKffii.num_named_barrier, 0
	.set _ZN4vllm42fused_add_rms_norm_static_fp8_quant_kernelIN3c104HalfELi0ENS1_13Float8_e4m3fnEEENSt9enable_ifIXooeqT0_Li0Entsr12_typeConvertIT_EE6existsEvE4typeEPT1_PS5_iSA_PKS5_PKffii.private_seg_size, 0
	.set _ZN4vllm42fused_add_rms_norm_static_fp8_quant_kernelIN3c104HalfELi0ENS1_13Float8_e4m3fnEEENSt9enable_ifIXooeqT0_Li0Entsr12_typeConvertIT_EE6existsEvE4typeEPT1_PS5_iSA_PKS5_PKffii.uses_vcc, 1
	.set _ZN4vllm42fused_add_rms_norm_static_fp8_quant_kernelIN3c104HalfELi0ENS1_13Float8_e4m3fnEEENSt9enable_ifIXooeqT0_Li0Entsr12_typeConvertIT_EE6existsEvE4typeEPT1_PS5_iSA_PKS5_PKffii.uses_flat_scratch, 0
	.set _ZN4vllm42fused_add_rms_norm_static_fp8_quant_kernelIN3c104HalfELi0ENS1_13Float8_e4m3fnEEENSt9enable_ifIXooeqT0_Li0Entsr12_typeConvertIT_EE6existsEvE4typeEPT1_PS5_iSA_PKS5_PKffii.has_dyn_sized_stack, 0
	.set _ZN4vllm42fused_add_rms_norm_static_fp8_quant_kernelIN3c104HalfELi0ENS1_13Float8_e4m3fnEEENSt9enable_ifIXooeqT0_Li0Entsr12_typeConvertIT_EE6existsEvE4typeEPT1_PS5_iSA_PKS5_PKffii.has_recursion, 0
	.set _ZN4vllm42fused_add_rms_norm_static_fp8_quant_kernelIN3c104HalfELi0ENS1_13Float8_e4m3fnEEENSt9enable_ifIXooeqT0_Li0Entsr12_typeConvertIT_EE6existsEvE4typeEPT1_PS5_iSA_PKS5_PKffii.has_indirect_call, 0
	.section	.AMDGPU.csdata,"",@progbits
; Kernel info:
; codeLenInByte = 2052
; TotalNumSgprs: 21
; NumVgprs: 17
; ScratchSize: 0
; MemoryBound: 0
; FloatMode: 240
; IeeeMode: 1
; LDSByteSize: 68 bytes/workgroup (compile time only)
; SGPRBlocks: 0
; VGPRBlocks: 1
; NumSGPRsForWavesPerEU: 21
; NumVGPRsForWavesPerEU: 17
; NamedBarCnt: 0
; Occupancy: 16
; WaveLimiterHint : 0
; COMPUTE_PGM_RSRC2:SCRATCH_EN: 0
; COMPUTE_PGM_RSRC2:USER_SGPR: 2
; COMPUTE_PGM_RSRC2:TRAP_HANDLER: 0
; COMPUTE_PGM_RSRC2:TGID_X_EN: 1
; COMPUTE_PGM_RSRC2:TGID_Y_EN: 0
; COMPUTE_PGM_RSRC2:TGID_Z_EN: 0
; COMPUTE_PGM_RSRC2:TIDIG_COMP_CNT: 0
	.section	.text._ZN4vllm42fused_add_rms_norm_static_fp8_quant_kernelIN3c104HalfELi0ENS1_15Float8_e4m3fnuzEEENSt9enable_ifIXooeqT0_Li0Entsr12_typeConvertIT_EE6existsEvE4typeEPT1_PS5_iSA_PKS5_PKffii,"axG",@progbits,_ZN4vllm42fused_add_rms_norm_static_fp8_quant_kernelIN3c104HalfELi0ENS1_15Float8_e4m3fnuzEEENSt9enable_ifIXooeqT0_Li0Entsr12_typeConvertIT_EE6existsEvE4typeEPT1_PS5_iSA_PKS5_PKffii,comdat
	.protected	_ZN4vllm42fused_add_rms_norm_static_fp8_quant_kernelIN3c104HalfELi0ENS1_15Float8_e4m3fnuzEEENSt9enable_ifIXooeqT0_Li0Entsr12_typeConvertIT_EE6existsEvE4typeEPT1_PS5_iSA_PKS5_PKffii ; -- Begin function _ZN4vllm42fused_add_rms_norm_static_fp8_quant_kernelIN3c104HalfELi0ENS1_15Float8_e4m3fnuzEEENSt9enable_ifIXooeqT0_Li0Entsr12_typeConvertIT_EE6existsEvE4typeEPT1_PS5_iSA_PKS5_PKffii
	.globl	_ZN4vllm42fused_add_rms_norm_static_fp8_quant_kernelIN3c104HalfELi0ENS1_15Float8_e4m3fnuzEEENSt9enable_ifIXooeqT0_Li0Entsr12_typeConvertIT_EE6existsEvE4typeEPT1_PS5_iSA_PKS5_PKffii
	.p2align	8
	.type	_ZN4vllm42fused_add_rms_norm_static_fp8_quant_kernelIN3c104HalfELi0ENS1_15Float8_e4m3fnuzEEENSt9enable_ifIXooeqT0_Li0Entsr12_typeConvertIT_EE6existsEvE4typeEPT1_PS5_iSA_PKS5_PKffii,@function
_ZN4vllm42fused_add_rms_norm_static_fp8_quant_kernelIN3c104HalfELi0ENS1_15Float8_e4m3fnuzEEENSt9enable_ifIXooeqT0_Li0Entsr12_typeConvertIT_EE6existsEvE4typeEPT1_PS5_iSA_PKS5_PKffii: ; @_ZN4vllm42fused_add_rms_norm_static_fp8_quant_kernelIN3c104HalfELi0ENS1_15Float8_e4m3fnuzEEENSt9enable_ifIXooeqT0_Li0Entsr12_typeConvertIT_EE6existsEvE4typeEPT1_PS5_iSA_PKS5_PKffii
; %bb.0:
	s_clause 0x1
	s_load_b32 s11, s[0:1], 0x38
	s_load_b64 s[12:13], s[0:1], 0x18
	s_getreg_b32 s14, hwreg(HW_REG_IB_STS2, 6, 4)
	s_mov_b32 s3, exec_lo
                                        ; implicit-def: $sgpr8
                                        ; implicit-def: $sgpr9
	s_wait_kmcnt 0x0
	v_cmp_gt_i32_e64 s2, s11, v0
	v_cmpx_le_i32_e64 s11, v0
	s_xor_b32 s3, exec_lo, s3
	s_cbranch_execz .LBB15_2
; %bb.1:
	s_load_b32 s4, s[0:1], 0x4c
	s_bfe_u32 s5, ttmp6, 0x4000c
	s_and_b32 s6, ttmp6, 15
	s_add_co_i32 s5, s5, 1
	s_delay_alu instid0(SALU_CYCLE_1) | instskip(NEXT) | instid1(SALU_CYCLE_1)
	s_mul_i32 s5, ttmp9, s5
	s_add_co_i32 s6, s6, s5
	s_cmp_eq_u32 s14, 0
	s_cselect_b32 s8, ttmp9, s6
	s_wait_kmcnt 0x0
	s_and_b32 s9, s4, 0xffff
.LBB15_2:
	s_or_saveexec_b32 s3, s3
	s_load_b128 s[4:7], s[0:1], 0x20
	v_dual_mov_b32 v4, 0 :: v_dual_mov_b32 v2, s8
	v_mov_b32_e32 v1, s9
	s_xor_b32 exec_lo, exec_lo, s3
	s_cbranch_execz .LBB15_6
; %bb.3:
	s_clause 0x1
	s_load_b96 s[8:10], s[0:1], 0x8
	s_load_b32 s18, s[0:1], 0x4c
	s_bfe_u32 s15, ttmp6, 0x4000c
	s_and_b32 s16, ttmp6, 15
	s_add_co_i32 s15, s15, 1
	v_dual_mov_b32 v4, 0 :: v_dual_mov_b32 v1, v0
	s_mul_i32 s17, ttmp9, s15
	s_mov_b32 s15, 0
	s_add_co_i32 s16, s16, s17
	s_cmp_eq_u32 s14, 0
	s_cselect_b32 s14, ttmp9, s16
	s_delay_alu instid0(SALU_CYCLE_1)
	s_mul_i32 s16, s11, s14
	s_wait_kmcnt 0x0
	s_mul_i32 s17, s10, s14
	s_and_b32 s10, s18, 0xffff
.LBB15_4:                               ; =>This Inner Loop Header: Depth=1
	v_dual_add_nc_u32 v2, s17, v1 :: v_dual_add_nc_u32 v3, s16, v1
	v_add_nc_u32_e32 v1, s10, v1
	global_load_u16 v5, v2, s[8:9] scale_offset
	global_load_u16 v6, v3, s[12:13] scale_offset
	v_cmp_le_i32_e32 vcc_lo, s11, v1
	s_or_b32 s15, vcc_lo, s15
	s_wait_loadcnt 0x0
	s_wait_xcnt 0x1
	v_add_f16_e32 v2, v5, v6
	s_delay_alu instid0(VALU_DEP_1)
	v_fma_mix_f32 v4, v2, v2, v4 op_sel_hi:[1,1,0]
	global_store_b16 v3, v2, s[12:13] scale_offset
	s_wait_xcnt 0x0
	s_and_not1_b32 exec_lo, exec_lo, s15
	s_cbranch_execnz .LBB15_4
; %bb.5:
	s_or_b32 exec_lo, exec_lo, s15
	v_dual_mov_b32 v2, s14 :: v_dual_mov_b32 v1, s10
.LBB15_6:
	s_or_b32 exec_lo, exec_lo, s3
	v_mbcnt_lo_u32_b32 v3, -1, 0
	v_and_b32_e32 v6, 0x3c0, v0
	s_load_b64 s[8:9], s[0:1], 0x0
	s_mov_b32 s3, exec_lo
	s_delay_alu instid0(VALU_DEP_2) | instskip(NEXT) | instid1(VALU_DEP_2)
	v_cmp_ne_u32_e32 vcc_lo, 63, v3
	v_sub_nc_u32_e64 v6, v1, v6 clamp
	v_add_nc_u32_e32 v8, 1, v3
	v_add_co_ci_u32_e64 v5, null, 0, v3, vcc_lo
	v_cmp_gt_u32_e32 vcc_lo, 62, v3
	s_delay_alu instid0(VALU_DEP_2)
	v_lshlrev_b32_e32 v5, 2, v5
	v_cndmask_b32_e64 v7, 0, 2, vcc_lo
	v_cmp_lt_u32_e32 vcc_lo, v8, v6
	v_add_nc_u32_e32 v8, 2, v3
	ds_bpermute_b32 v5, v5, v4
	v_add_lshl_u32 v7, v7, v3, 2
	s_wait_dscnt 0x0
	v_add_f32_e32 v5, v4, v5
	s_delay_alu instid0(VALU_DEP_1)
	v_cndmask_b32_e32 v4, v4, v5, vcc_lo
	v_cmp_gt_u32_e32 vcc_lo, 60, v3
	ds_bpermute_b32 v5, v7, v4
	v_cndmask_b32_e64 v7, 0, 4, vcc_lo
	v_cmp_lt_u32_e32 vcc_lo, v8, v6
	v_add_nc_u32_e32 v8, 4, v3
	s_delay_alu instid0(VALU_DEP_3) | instskip(SKIP_2) | instid1(VALU_DEP_1)
	v_add_lshl_u32 v7, v7, v3, 2
	s_wait_dscnt 0x0
	v_add_f32_e32 v5, v4, v5
	v_cndmask_b32_e32 v4, v4, v5, vcc_lo
	v_cmp_gt_u32_e32 vcc_lo, 56, v3
	ds_bpermute_b32 v5, v7, v4
	v_cndmask_b32_e64 v7, 0, 8, vcc_lo
	v_cmp_lt_u32_e32 vcc_lo, v8, v6
	v_add_nc_u32_e32 v8, 8, v3
	s_delay_alu instid0(VALU_DEP_3) | instskip(SKIP_2) | instid1(VALU_DEP_1)
	v_add_lshl_u32 v7, v7, v3, 2
	s_wait_dscnt 0x0
	v_add_f32_e32 v5, v4, v5
	v_cndmask_b32_e32 v4, v4, v5, vcc_lo
	v_cmp_gt_u32_e32 vcc_lo, 48, v3
	ds_bpermute_b32 v5, v7, v4
	v_cndmask_b32_e64 v7, 0, 16, vcc_lo
	v_cmp_lt_u32_e32 vcc_lo, v8, v6
	s_delay_alu instid0(VALU_DEP_2) | instskip(SKIP_2) | instid1(VALU_DEP_1)
	v_add_lshl_u32 v7, v7, v3, 2
	s_wait_dscnt 0x0
	v_add_f32_e32 v5, v4, v5
	v_cndmask_b32_e32 v5, v4, v5, vcc_lo
	ds_bpermute_b32 v4, v7, v5
	v_add_nc_u32_e32 v7, 16, v3
	s_delay_alu instid0(VALU_DEP_1) | instskip(SKIP_2) | instid1(VALU_DEP_1)
	v_cmp_lt_u32_e32 vcc_lo, v7, v6
	s_wait_dscnt 0x0
	v_dual_add_f32 v8, v5, v4 :: v_dual_lshlrev_b32 v4, 2, v3
	v_dual_cndmask_b32 v5, v5, v8, vcc_lo :: v_dual_bitop2_b32 v8, 32, v3 bitop3:0x54
	ds_bpermute_b32 v7, v4, v5 offset:128
	v_cmp_lt_u32_e32 vcc_lo, v8, v6
	s_wait_dscnt 0x0
	v_add_f32_e32 v7, v5, v7
	s_delay_alu instid0(VALU_DEP_1)
	v_cndmask_b32_e32 v5, v5, v7, vcc_lo
	v_cmpx_eq_u32_e32 0, v3
; %bb.7:
	v_lshrrev_b32_e32 v6, 4, v0
	s_delay_alu instid0(VALU_DEP_1)
	v_and_b32_e32 v6, 60, v6
	ds_store_b32 v6, v5
; %bb.8:
	s_or_b32 exec_lo, exec_lo, s3
	s_delay_alu instid0(SALU_CYCLE_1)
	s_mov_b32 s10, exec_lo
	s_wait_storecnt_dscnt 0x0
	s_barrier_signal -1
	s_barrier_wait -1
	v_cmpx_gt_u32_e32 16, v0
	s_cbranch_execz .LBB15_10
; %bb.9:
	ds_load_b32 v5, v4
	v_dual_add_nc_u32 v8, 63, v1 :: v_dual_bitop2_b32 v6, 15, v3 bitop3:0x40
	v_or_b32_e32 v4, 32, v4
	s_delay_alu instid0(VALU_DEP_2) | instskip(NEXT) | instid1(VALU_DEP_3)
	v_cmp_ne_u32_e32 vcc_lo, 15, v6
	v_dual_lshrrev_b32 v8, 6, v8 :: v_dual_add_nc_u32 v11, 2, v6
	v_cmp_gt_u32_e64 s3, 12, v6
	v_add_co_ci_u32_e64 v7, null, 0, v3, vcc_lo
	v_cmp_gt_u32_e32 vcc_lo, 14, v6
	s_delay_alu instid0(VALU_DEP_2)
	v_lshlrev_b32_e32 v7, 2, v7
	v_cndmask_b32_e64 v9, 0, 2, vcc_lo
	s_wait_dscnt 0x0
	ds_bpermute_b32 v7, v7, v5
	v_add_nc_u32_e32 v10, 1, v6
	v_add_lshl_u32 v9, v9, v3, 2
	s_wait_dscnt 0x0
	v_add_f32_e32 v7, v5, v7
	s_delay_alu instid0(VALU_DEP_3) | instskip(SKIP_2) | instid1(VALU_DEP_4)
	v_cmp_lt_u32_e32 vcc_lo, v10, v8
	v_cndmask_b32_e64 v10, 0, 4, s3
	v_cmp_lt_u32_e64 s3, v11, v8
	v_cndmask_b32_e32 v7, v5, v7, vcc_lo
	s_delay_alu instid0(VALU_DEP_3) | instskip(SKIP_3) | instid1(VALU_DEP_1)
	v_add_lshl_u32 v3, v10, v3, 2
	ds_bpermute_b32 v9, v9, v7
	s_wait_dscnt 0x0
	v_add_f32_e32 v9, v7, v9
	v_dual_cndmask_b32 v7, v7, v9, s3 :: v_dual_add_nc_u32 v9, 4, v6
	ds_bpermute_b32 v3, v3, v7
	v_cmp_lt_u32_e64 s3, v9, v8
	s_wait_dscnt 0x0
	v_add_f32_e32 v3, v7, v3
	s_delay_alu instid0(VALU_DEP_1) | instskip(SKIP_3) | instid1(VALU_DEP_1)
	v_cndmask_b32_e64 v3, v7, v3, s3
	ds_bpermute_b32 v4, v4, v3
	s_wait_dscnt 0x0
	v_dual_add_nc_u32 v6, 8, v6 :: v_dual_add_f32 v4, v3, v4
	v_cmp_lt_u32_e64 s3, v6, v8
	s_delay_alu instid0(VALU_DEP_1) | instskip(NEXT) | instid1(VALU_DEP_1)
	v_cndmask_b32_e64 v3, v3, v4, s3
	v_cndmask_b32_e32 v5, v5, v3, vcc_lo
.LBB15_10:
	s_or_b32 exec_lo, exec_lo, s10
	s_delay_alu instid0(SALU_CYCLE_1)
	s_mov_b32 s3, exec_lo
	v_cmpx_eq_u32_e32 0, v0
	s_cbranch_execz .LBB15_12
; %bb.11:
	s_cvt_f32_i32 s10, s11
	s_wait_xcnt 0x0
	s_load_b32 s0, s[0:1], 0x30
	s_delay_alu instid0(SALU_CYCLE_1) | instskip(SKIP_1) | instid1(VALU_DEP_2)
	v_div_scale_f32 v3, null, s10, s10, v5
	v_div_scale_f32 v7, vcc_lo, v5, s10, v5
	v_rcp_f32_e32 v4, v3
	v_nop
	s_delay_alu instid0(TRANS32_DEP_1) | instskip(NEXT) | instid1(VALU_DEP_1)
	v_fma_f32 v6, -v3, v4, 1.0
	v_fmac_f32_e32 v4, v6, v4
	s_delay_alu instid0(VALU_DEP_1) | instskip(NEXT) | instid1(VALU_DEP_1)
	v_mul_f32_e32 v6, v7, v4
	v_fma_f32 v8, -v3, v6, v7
	s_delay_alu instid0(VALU_DEP_1) | instskip(NEXT) | instid1(VALU_DEP_1)
	v_fmac_f32_e32 v6, v8, v4
	v_fma_f32 v3, -v3, v6, v7
	s_delay_alu instid0(VALU_DEP_1) | instskip(NEXT) | instid1(VALU_DEP_1)
	v_div_fmas_f32 v3, v3, v4, v6
	v_div_fixup_f32 v3, v3, s10, v5
	s_wait_kmcnt 0x0
	s_delay_alu instid0(VALU_DEP_1) | instskip(NEXT) | instid1(VALU_DEP_1)
	v_add_f32_e32 v3, s0, v3
	v_mul_f32_e32 v4, 0x4b800000, v3
	v_cmp_gt_f32_e32 vcc_lo, 0x800000, v3
	s_delay_alu instid0(VALU_DEP_2) | instskip(NEXT) | instid1(VALU_DEP_1)
	v_cndmask_b32_e32 v3, v3, v4, vcc_lo
	v_rsq_f32_e32 v3, v3
	v_nop
	s_delay_alu instid0(TRANS32_DEP_1) | instskip(NEXT) | instid1(VALU_DEP_1)
	v_mul_f32_e32 v4, 0x45800000, v3
	v_dual_cndmask_b32 v3, v3, v4 :: v_dual_mov_b32 v4, 0
	ds_store_b32 v4, v3 offset:64
.LBB15_12:
	s_or_b32 exec_lo, exec_lo, s3
	s_wait_dscnt 0x0
	s_barrier_signal -1
	s_barrier_wait -1
	s_wait_xcnt 0x0
	s_and_saveexec_b32 s0, s2
	s_cbranch_execz .LBB15_27
; %bb.13:
	s_wait_kmcnt 0x0
	s_load_b32 s0, s[6:7], 0x0
	v_mul_lo_u32 v9, s11, v2
	s_mov_b32 s2, 0
	s_mov_b32 s3, 0x43600000
	s_wait_kmcnt 0x0
	v_div_scale_f32 v3, null, s0, s0, 1.0
	v_div_scale_f32 v6, vcc_lo, 1.0, s0, 1.0
	s_delay_alu instid0(VALU_DEP_2)
	v_rcp_f32_e32 v4, v3
	v_xor_b32_e32 v5, 0x80000000, v3
	s_delay_alu instid0(TRANS32_DEP_1) | instid1(VALU_DEP_1)
	v_fma_f32 v3, v5, v4, 1.0
	s_delay_alu instid0(VALU_DEP_1) | instskip(NEXT) | instid1(VALU_DEP_1)
	v_dual_fmac_f32 v4, v3, v4 :: v_dual_mov_b32 v3, 0
	v_mul_f32_e32 v7, v6, v4
	s_delay_alu instid0(VALU_DEP_1) | instskip(NEXT) | instid1(VALU_DEP_1)
	v_fma_f32 v8, v5, v7, v6
	v_fmac_f32_e32 v7, v8, v4
	ds_load_b32 v8, v3 offset:64
	v_fmac_f32_e32 v6, v5, v7
	s_delay_alu instid0(VALU_DEP_1) | instskip(NEXT) | instid1(VALU_DEP_1)
	v_div_fmas_f32 v2, v6, v4, v7
	v_div_fixup_f32 v10, v2, s0, 1.0
	s_branch .LBB15_16
.LBB15_14:                              ;   in Loop: Header=BB15_16 Depth=1
	s_or_b32 exec_lo, exec_lo, s0
.LBB15_15:                              ;   in Loop: Header=BB15_16 Depth=1
	s_delay_alu instid0(SALU_CYCLE_1) | instskip(SKIP_1) | instid1(VALU_DEP_1)
	s_or_b32 exec_lo, exec_lo, s6
	v_dual_mov_b32 v5, v3 :: v_dual_add_nc_u32 v0, v0, v1
	v_add_nc_u64_e32 v[4:5], s[8:9], v[4:5]
	s_delay_alu instid0(VALU_DEP_2)
	v_cmp_le_i32_e32 vcc_lo, s11, v0
	s_or_b32 s2, vcc_lo, s2
	global_store_b8 v[4:5], v2, off
	s_wait_xcnt 0x0
	s_and_not1_b32 exec_lo, exec_lo, s2
	s_cbranch_execz .LBB15_27
.LBB15_16:                              ; =>This Inner Loop Header: Depth=1
	v_add_nc_u32_e32 v4, v9, v0
	global_load_u16 v2, v4, s[12:13] scale_offset
	global_load_u16 v5, v0, s[4:5] scale_offset
	s_wait_loadcnt_dscnt 0x100
	v_fma_mixlo_f16 v2, v8, v2, 0 op_sel_hi:[0,1,0]
	s_wait_loadcnt 0x0
	s_delay_alu instid0(VALU_DEP_1) | instskip(NEXT) | instid1(VALU_DEP_1)
	v_mul_f16_e32 v2, v5, v2
	v_cvt_f32_f16_e32 v2, v2
	s_delay_alu instid0(VALU_DEP_1) | instskip(NEXT) | instid1(VALU_DEP_1)
	v_mul_f32_e32 v2, v10, v2
	v_minmax_num_f32 v5, v2, s3, 0xc3600000
	s_delay_alu instid0(VALU_DEP_1) | instskip(NEXT) | instid1(VALU_DEP_1)
	v_and_b32_e32 v2, 0x7f800000, v5
	v_cmp_ne_u64_e32 vcc_lo, 0x7f800000, v[2:3]
	v_mov_b32_e32 v2, 0x80
	s_wait_xcnt 0x0
	s_and_saveexec_b32 s6, vcc_lo
	s_cbranch_execz .LBB15_15
; %bb.17:                               ;   in Loop: Header=BB15_16 Depth=1
	v_and_b32_e32 v2, 0x7fffffff, v5
	s_delay_alu instid0(VALU_DEP_1) | instskip(SKIP_1) | instid1(SALU_CYCLE_1)
	v_cmp_gt_u64_e32 vcc_lo, 0x43700001, v[2:3]
                                        ; implicit-def: $vgpr2
	s_and_saveexec_b32 s0, vcc_lo
	s_xor_b32 s7, exec_lo, s0
	s_cbranch_execz .LBB15_25
; %bb.18:                               ;   in Loop: Header=BB15_16 Depth=1
	v_mov_b32_e32 v2, 0
	s_mov_b32 s10, exec_lo
	v_cmpx_ne_u32_e32 0, v5
	s_cbranch_execz .LBB15_24
; %bb.19:                               ;   in Loop: Header=BB15_16 Depth=1
	v_bfe_u32 v11, v5, 23, 8
	v_and_b32_e32 v6, 0x7fffff, v5
	s_delay_alu instid0(VALU_DEP_2) | instskip(SKIP_2) | instid1(VALU_DEP_3)
	v_sub_nc_u32_e64 v2, 0x78, v11 clamp
	v_cmp_eq_u32_e32 vcc_lo, 0, v11
	v_add_nc_u32_e32 v11, 0xffffff89, v11
	v_cndmask_b32_e64 v16, v2, 0x77, vcc_lo
	v_or_b32_e32 v2, 0x800000, v6
	s_delay_alu instid0(VALU_DEP_1) | instskip(NEXT) | instid1(VALU_DEP_1)
	v_dual_cndmask_b32 v2, v2, v6 :: v_dual_add_nc_u32 v7, 20, v16
	v_lshlrev_b64_e64 v[6:7], v7, -1
	s_delay_alu instid0(VALU_DEP_2) | instskip(SKIP_1) | instid1(VALU_DEP_1)
	v_lshrrev_b64 v[14:15], v16, v[2:3]
	v_add_nc_u32_e32 v12, 19, v16
	v_lshlrev_b64_e64 v[12:13], v12, 1
	s_delay_alu instid0(VALU_DEP_4) | instskip(SKIP_2) | instid1(VALU_DEP_2)
	v_bfi_b32 v7, v7, 0, 0
	v_bfi_b32 v6, v6, 0, v2
	v_and_b32_e32 v2, 0x100000, v14
	v_cmp_eq_u64_e64 s0, v[6:7], v[12:13]
	s_delay_alu instid0(VALU_DEP_2) | instskip(SKIP_3) | instid1(VALU_DEP_1)
	v_cmp_eq_u64_e64 s1, 0, v[2:3]
	v_cndmask_b32_e64 v2, v11, 0xffffff8a, vcc_lo
	v_lshrrev_b32_e32 v6, 23, v14
                                        ; implicit-def: $vgpr11
	s_and_b32 vcc_lo, s1, s0
	v_add3_u32 v12, v2, v16, v6
	v_subrev_co_ci_u32_e64 v7, null, 0, v14, vcc_lo
	s_mov_b32 s0, exec_lo
	v_and_b32_e32 v2, 0xfffff, v7
	v_add_nc_u32_e32 v13, -1, v12
                                        ; implicit-def: $vgpr6_vgpr7
	s_delay_alu instid0(VALU_DEP_2) | instskip(NEXT) | instid1(VALU_DEP_2)
	v_add_nc_u32_e32 v2, v2, v14
	v_cmpx_ne_u32_e32 0, v13
	s_xor_b32 s0, exec_lo, s0
	s_cbranch_execz .LBB15_21
; %bb.20:                               ;   in Loop: Header=BB15_16 Depth=1
	s_delay_alu instid0(VALU_DEP_2) | instskip(SKIP_2) | instid1(VALU_DEP_2)
	v_and_b32_e32 v14, 0x1000000, v2
	v_mov_b32_e32 v15, v3
	v_bfe_u32 v6, v2, 24, 1
	v_cmp_eq_u64_e32 vcc_lo, 0, v[14:15]
	s_delay_alu instid0(VALU_DEP_2)
	v_lshrrev_b64 v[6:7], v6, v[2:3]
	v_cndmask_b32_e32 v11, v12, v13, vcc_lo
.LBB15_21:                              ;   in Loop: Header=BB15_16 Depth=1
	s_and_not1_saveexec_b32 s0, s0
; %bb.22:                               ;   in Loop: Header=BB15_16 Depth=1
	v_mov_b64_e32 v[6:7], v[2:3]
	v_bfe_u32 v11, v2, 23, 1
; %bb.23:                               ;   in Loop: Header=BB15_16 Depth=1
	s_or_b32 exec_lo, exec_lo, s0
	s_delay_alu instid0(VALU_DEP_2) | instskip(NEXT) | instid1(VALU_DEP_2)
	v_lshrrev_b64 v[6:7], 20, v[6:7]
	v_dual_lshrrev_b32 v2, 24, v5 :: v_dual_min_i32 v5, 15, v11
	v_cmp_gt_i32_e32 vcc_lo, 16, v11
	v_cmp_eq_u32_e64 s0, 0, v11
	s_delay_alu instid0(VALU_DEP_3) | instskip(SKIP_1) | instid1(VALU_DEP_2)
	v_and_b32_e32 v2, 0x80, v2
	v_dual_cndmask_b32 v7, 0, v7 :: v_dual_cndmask_b32 v6, 7, v6
	v_lshl_or_b32 v2, v5, 3, v2
	s_delay_alu instid0(VALU_DEP_2) | instskip(NEXT) | instid1(VALU_DEP_2)
	v_cmp_eq_u64_e32 vcc_lo, 0, v[6:7]
	v_and_or_b32 v2, v6, 7, v2
	s_and_b32 s0, s0, vcc_lo
	s_delay_alu instid0(VALU_DEP_1) | instid1(SALU_CYCLE_1)
	v_cndmask_b32_e64 v2, v2, 0, s0
.LBB15_24:                              ;   in Loop: Header=BB15_16 Depth=1
	s_or_b32 exec_lo, exec_lo, s10
                                        ; implicit-def: $vgpr5
.LBB15_25:                              ;   in Loop: Header=BB15_16 Depth=1
	s_and_not1_saveexec_b32 s0, s7
	s_cbranch_execz .LBB15_14
; %bb.26:                               ;   in Loop: Header=BB15_16 Depth=1
	v_lshrrev_b32_e32 v2, 24, v5
	s_delay_alu instid0(VALU_DEP_1)
	v_or_b32_e32 v2, 0x7f, v2
	s_branch .LBB15_14
.LBB15_27:
	s_endpgm
	.section	.rodata,"a",@progbits
	.p2align	6, 0x0
	.amdhsa_kernel _ZN4vllm42fused_add_rms_norm_static_fp8_quant_kernelIN3c104HalfELi0ENS1_15Float8_e4m3fnuzEEENSt9enable_ifIXooeqT0_Li0Entsr12_typeConvertIT_EE6existsEvE4typeEPT1_PS5_iSA_PKS5_PKffii
		.amdhsa_group_segment_fixed_size 68
		.amdhsa_private_segment_fixed_size 0
		.amdhsa_kernarg_size 320
		.amdhsa_user_sgpr_count 2
		.amdhsa_user_sgpr_dispatch_ptr 0
		.amdhsa_user_sgpr_queue_ptr 0
		.amdhsa_user_sgpr_kernarg_segment_ptr 1
		.amdhsa_user_sgpr_dispatch_id 0
		.amdhsa_user_sgpr_kernarg_preload_length 0
		.amdhsa_user_sgpr_kernarg_preload_offset 0
		.amdhsa_user_sgpr_private_segment_size 0
		.amdhsa_wavefront_size32 1
		.amdhsa_uses_dynamic_stack 0
		.amdhsa_enable_private_segment 0
		.amdhsa_system_sgpr_workgroup_id_x 1
		.amdhsa_system_sgpr_workgroup_id_y 0
		.amdhsa_system_sgpr_workgroup_id_z 0
		.amdhsa_system_sgpr_workgroup_info 0
		.amdhsa_system_vgpr_workitem_id 0
		.amdhsa_next_free_vgpr 17
		.amdhsa_next_free_sgpr 19
		.amdhsa_named_barrier_count 0
		.amdhsa_reserve_vcc 1
		.amdhsa_float_round_mode_32 0
		.amdhsa_float_round_mode_16_64 0
		.amdhsa_float_denorm_mode_32 3
		.amdhsa_float_denorm_mode_16_64 3
		.amdhsa_fp16_overflow 0
		.amdhsa_memory_ordered 1
		.amdhsa_forward_progress 1
		.amdhsa_inst_pref_size 16
		.amdhsa_round_robin_scheduling 0
		.amdhsa_exception_fp_ieee_invalid_op 0
		.amdhsa_exception_fp_denorm_src 0
		.amdhsa_exception_fp_ieee_div_zero 0
		.amdhsa_exception_fp_ieee_overflow 0
		.amdhsa_exception_fp_ieee_underflow 0
		.amdhsa_exception_fp_ieee_inexact 0
		.amdhsa_exception_int_div_zero 0
	.end_amdhsa_kernel
	.section	.text._ZN4vllm42fused_add_rms_norm_static_fp8_quant_kernelIN3c104HalfELi0ENS1_15Float8_e4m3fnuzEEENSt9enable_ifIXooeqT0_Li0Entsr12_typeConvertIT_EE6existsEvE4typeEPT1_PS5_iSA_PKS5_PKffii,"axG",@progbits,_ZN4vllm42fused_add_rms_norm_static_fp8_quant_kernelIN3c104HalfELi0ENS1_15Float8_e4m3fnuzEEENSt9enable_ifIXooeqT0_Li0Entsr12_typeConvertIT_EE6existsEvE4typeEPT1_PS5_iSA_PKS5_PKffii,comdat
.Lfunc_end15:
	.size	_ZN4vllm42fused_add_rms_norm_static_fp8_quant_kernelIN3c104HalfELi0ENS1_15Float8_e4m3fnuzEEENSt9enable_ifIXooeqT0_Li0Entsr12_typeConvertIT_EE6existsEvE4typeEPT1_PS5_iSA_PKS5_PKffii, .Lfunc_end15-_ZN4vllm42fused_add_rms_norm_static_fp8_quant_kernelIN3c104HalfELi0ENS1_15Float8_e4m3fnuzEEENSt9enable_ifIXooeqT0_Li0Entsr12_typeConvertIT_EE6existsEvE4typeEPT1_PS5_iSA_PKS5_PKffii
                                        ; -- End function
	.set _ZN4vllm42fused_add_rms_norm_static_fp8_quant_kernelIN3c104HalfELi0ENS1_15Float8_e4m3fnuzEEENSt9enable_ifIXooeqT0_Li0Entsr12_typeConvertIT_EE6existsEvE4typeEPT1_PS5_iSA_PKS5_PKffii.num_vgpr, 17
	.set _ZN4vllm42fused_add_rms_norm_static_fp8_quant_kernelIN3c104HalfELi0ENS1_15Float8_e4m3fnuzEEENSt9enable_ifIXooeqT0_Li0Entsr12_typeConvertIT_EE6existsEvE4typeEPT1_PS5_iSA_PKS5_PKffii.num_agpr, 0
	.set _ZN4vllm42fused_add_rms_norm_static_fp8_quant_kernelIN3c104HalfELi0ENS1_15Float8_e4m3fnuzEEENSt9enable_ifIXooeqT0_Li0Entsr12_typeConvertIT_EE6existsEvE4typeEPT1_PS5_iSA_PKS5_PKffii.numbered_sgpr, 19
	.set _ZN4vllm42fused_add_rms_norm_static_fp8_quant_kernelIN3c104HalfELi0ENS1_15Float8_e4m3fnuzEEENSt9enable_ifIXooeqT0_Li0Entsr12_typeConvertIT_EE6existsEvE4typeEPT1_PS5_iSA_PKS5_PKffii.num_named_barrier, 0
	.set _ZN4vllm42fused_add_rms_norm_static_fp8_quant_kernelIN3c104HalfELi0ENS1_15Float8_e4m3fnuzEEENSt9enable_ifIXooeqT0_Li0Entsr12_typeConvertIT_EE6existsEvE4typeEPT1_PS5_iSA_PKS5_PKffii.private_seg_size, 0
	.set _ZN4vllm42fused_add_rms_norm_static_fp8_quant_kernelIN3c104HalfELi0ENS1_15Float8_e4m3fnuzEEENSt9enable_ifIXooeqT0_Li0Entsr12_typeConvertIT_EE6existsEvE4typeEPT1_PS5_iSA_PKS5_PKffii.uses_vcc, 1
	.set _ZN4vllm42fused_add_rms_norm_static_fp8_quant_kernelIN3c104HalfELi0ENS1_15Float8_e4m3fnuzEEENSt9enable_ifIXooeqT0_Li0Entsr12_typeConvertIT_EE6existsEvE4typeEPT1_PS5_iSA_PKS5_PKffii.uses_flat_scratch, 0
	.set _ZN4vllm42fused_add_rms_norm_static_fp8_quant_kernelIN3c104HalfELi0ENS1_15Float8_e4m3fnuzEEENSt9enable_ifIXooeqT0_Li0Entsr12_typeConvertIT_EE6existsEvE4typeEPT1_PS5_iSA_PKS5_PKffii.has_dyn_sized_stack, 0
	.set _ZN4vllm42fused_add_rms_norm_static_fp8_quant_kernelIN3c104HalfELi0ENS1_15Float8_e4m3fnuzEEENSt9enable_ifIXooeqT0_Li0Entsr12_typeConvertIT_EE6existsEvE4typeEPT1_PS5_iSA_PKS5_PKffii.has_recursion, 0
	.set _ZN4vllm42fused_add_rms_norm_static_fp8_quant_kernelIN3c104HalfELi0ENS1_15Float8_e4m3fnuzEEENSt9enable_ifIXooeqT0_Li0Entsr12_typeConvertIT_EE6existsEvE4typeEPT1_PS5_iSA_PKS5_PKffii.has_indirect_call, 0
	.section	.AMDGPU.csdata,"",@progbits
; Kernel info:
; codeLenInByte = 2040
; TotalNumSgprs: 21
; NumVgprs: 17
; ScratchSize: 0
; MemoryBound: 0
; FloatMode: 240
; IeeeMode: 1
; LDSByteSize: 68 bytes/workgroup (compile time only)
; SGPRBlocks: 0
; VGPRBlocks: 1
; NumSGPRsForWavesPerEU: 21
; NumVGPRsForWavesPerEU: 17
; NamedBarCnt: 0
; Occupancy: 16
; WaveLimiterHint : 0
; COMPUTE_PGM_RSRC2:SCRATCH_EN: 0
; COMPUTE_PGM_RSRC2:USER_SGPR: 2
; COMPUTE_PGM_RSRC2:TRAP_HANDLER: 0
; COMPUTE_PGM_RSRC2:TGID_X_EN: 1
; COMPUTE_PGM_RSRC2:TGID_Y_EN: 0
; COMPUTE_PGM_RSRC2:TGID_Z_EN: 0
; COMPUTE_PGM_RSRC2:TIDIG_COMP_CNT: 0
	.section	.text._ZN4vllm42fused_add_rms_norm_static_fp8_quant_kernelIN3c108BFloat16ELi0ENS1_13Float8_e4m3fnEEENSt9enable_ifIXooeqT0_Li0Entsr12_typeConvertIT_EE6existsEvE4typeEPT1_PS5_iSA_PKS5_PKffii,"axG",@progbits,_ZN4vllm42fused_add_rms_norm_static_fp8_quant_kernelIN3c108BFloat16ELi0ENS1_13Float8_e4m3fnEEENSt9enable_ifIXooeqT0_Li0Entsr12_typeConvertIT_EE6existsEvE4typeEPT1_PS5_iSA_PKS5_PKffii,comdat
	.protected	_ZN4vllm42fused_add_rms_norm_static_fp8_quant_kernelIN3c108BFloat16ELi0ENS1_13Float8_e4m3fnEEENSt9enable_ifIXooeqT0_Li0Entsr12_typeConvertIT_EE6existsEvE4typeEPT1_PS5_iSA_PKS5_PKffii ; -- Begin function _ZN4vllm42fused_add_rms_norm_static_fp8_quant_kernelIN3c108BFloat16ELi0ENS1_13Float8_e4m3fnEEENSt9enable_ifIXooeqT0_Li0Entsr12_typeConvertIT_EE6existsEvE4typeEPT1_PS5_iSA_PKS5_PKffii
	.globl	_ZN4vllm42fused_add_rms_norm_static_fp8_quant_kernelIN3c108BFloat16ELi0ENS1_13Float8_e4m3fnEEENSt9enable_ifIXooeqT0_Li0Entsr12_typeConvertIT_EE6existsEvE4typeEPT1_PS5_iSA_PKS5_PKffii
	.p2align	8
	.type	_ZN4vllm42fused_add_rms_norm_static_fp8_quant_kernelIN3c108BFloat16ELi0ENS1_13Float8_e4m3fnEEENSt9enable_ifIXooeqT0_Li0Entsr12_typeConvertIT_EE6existsEvE4typeEPT1_PS5_iSA_PKS5_PKffii,@function
_ZN4vllm42fused_add_rms_norm_static_fp8_quant_kernelIN3c108BFloat16ELi0ENS1_13Float8_e4m3fnEEENSt9enable_ifIXooeqT0_Li0Entsr12_typeConvertIT_EE6existsEvE4typeEPT1_PS5_iSA_PKS5_PKffii: ; @_ZN4vllm42fused_add_rms_norm_static_fp8_quant_kernelIN3c108BFloat16ELi0ENS1_13Float8_e4m3fnEEENSt9enable_ifIXooeqT0_Li0Entsr12_typeConvertIT_EE6existsEvE4typeEPT1_PS5_iSA_PKS5_PKffii
; %bb.0:
	s_clause 0x1
	s_load_b32 s11, s[0:1], 0x38
	s_load_b64 s[12:13], s[0:1], 0x18
	s_getreg_b32 s14, hwreg(HW_REG_IB_STS2, 6, 4)
	s_mov_b32 s3, exec_lo
                                        ; implicit-def: $sgpr8
                                        ; implicit-def: $sgpr9
	s_wait_kmcnt 0x0
	v_cmp_gt_i32_e64 s2, s11, v0
	v_cmpx_le_i32_e64 s11, v0
	s_xor_b32 s3, exec_lo, s3
	s_cbranch_execz .LBB16_2
; %bb.1:
	s_load_b32 s4, s[0:1], 0x4c
	s_bfe_u32 s5, ttmp6, 0x4000c
	s_and_b32 s6, ttmp6, 15
	s_add_co_i32 s5, s5, 1
	s_delay_alu instid0(SALU_CYCLE_1) | instskip(NEXT) | instid1(SALU_CYCLE_1)
	s_mul_i32 s5, ttmp9, s5
	s_add_co_i32 s6, s6, s5
	s_cmp_eq_u32 s14, 0
	s_cselect_b32 s8, ttmp9, s6
	s_wait_kmcnt 0x0
	s_and_b32 s9, s4, 0xffff
.LBB16_2:
	s_or_saveexec_b32 s3, s3
	s_load_b128 s[4:7], s[0:1], 0x20
	v_dual_mov_b32 v4, 0 :: v_dual_mov_b32 v2, s8
	v_mov_b32_e32 v1, s9
	s_xor_b32 exec_lo, exec_lo, s3
	s_cbranch_execz .LBB16_6
; %bb.3:
	s_clause 0x1
	s_load_b96 s[8:10], s[0:1], 0x8
	s_load_b32 s18, s[0:1], 0x4c
	s_bfe_u32 s15, ttmp6, 0x4000c
	s_and_b32 s16, ttmp6, 15
	s_add_co_i32 s15, s15, 1
	v_dual_mov_b32 v4, 0 :: v_dual_mov_b32 v1, v0
	s_mul_i32 s17, ttmp9, s15
	s_mov_b32 s15, 0
	s_add_co_i32 s16, s16, s17
	s_cmp_eq_u32 s14, 0
	s_cselect_b32 s14, ttmp9, s16
	s_delay_alu instid0(SALU_CYCLE_1)
	s_mul_i32 s16, s11, s14
	s_wait_kmcnt 0x0
	s_mul_i32 s17, s10, s14
	s_and_b32 s10, s18, 0xffff
.LBB16_4:                               ; =>This Inner Loop Header: Depth=1
	v_dual_add_nc_u32 v2, s17, v1 :: v_dual_add_nc_u32 v3, s16, v1
	global_load_u16 v5, v2, s[8:9] scale_offset
	global_load_u16 v6, v3, s[12:13] scale_offset
	s_wait_loadcnt 0x0
	s_wait_xcnt 0x1
	v_dual_lshlrev_b32 v2, 16, v5 :: v_dual_lshlrev_b32 v5, 16, v6
	s_delay_alu instid0(VALU_DEP_1) | instskip(NEXT) | instid1(VALU_DEP_1)
	v_add_f32_e32 v2, v5, v2
	v_bfe_u32 v5, v2, 16, 1
	s_delay_alu instid0(VALU_DEP_1) | instskip(NEXT) | instid1(VALU_DEP_1)
	v_add3_u32 v5, v2, v5, 0x7fff
	v_lshrrev_b32_e32 v5, 16, v5
	v_cmp_o_f32_e32 vcc_lo, v2, v2
	s_delay_alu instid0(VALU_DEP_2) | instskip(NEXT) | instid1(VALU_DEP_1)
	v_cndmask_b32_e32 v2, 0x7fc0, v5, vcc_lo
	v_dual_add_nc_u32 v1, s10, v1 :: v_dual_lshlrev_b32 v5, 16, v2
	s_delay_alu instid0(VALU_DEP_1)
	v_cmp_le_i32_e32 vcc_lo, s11, v1
	global_store_b16 v3, v2, s[12:13] scale_offset
	v_fmac_f32_e32 v4, v5, v5
	s_or_b32 s15, vcc_lo, s15
	s_wait_xcnt 0x0
	s_and_not1_b32 exec_lo, exec_lo, s15
	s_cbranch_execnz .LBB16_4
; %bb.5:
	s_or_b32 exec_lo, exec_lo, s15
	v_dual_mov_b32 v2, s14 :: v_dual_mov_b32 v1, s10
.LBB16_6:
	s_or_b32 exec_lo, exec_lo, s3
	v_mbcnt_lo_u32_b32 v3, -1, 0
	v_and_b32_e32 v6, 0x3c0, v0
	s_load_b64 s[8:9], s[0:1], 0x0
	s_mov_b32 s3, exec_lo
	s_delay_alu instid0(VALU_DEP_2) | instskip(NEXT) | instid1(VALU_DEP_2)
	v_cmp_ne_u32_e32 vcc_lo, 63, v3
	v_sub_nc_u32_e64 v6, v1, v6 clamp
	v_add_nc_u32_e32 v8, 1, v3
	v_add_co_ci_u32_e64 v5, null, 0, v3, vcc_lo
	v_cmp_gt_u32_e32 vcc_lo, 62, v3
	s_delay_alu instid0(VALU_DEP_2)
	v_lshlrev_b32_e32 v5, 2, v5
	v_cndmask_b32_e64 v7, 0, 2, vcc_lo
	v_cmp_lt_u32_e32 vcc_lo, v8, v6
	v_add_nc_u32_e32 v8, 2, v3
	ds_bpermute_b32 v5, v5, v4
	v_add_lshl_u32 v7, v7, v3, 2
	s_wait_dscnt 0x0
	v_add_f32_e32 v5, v4, v5
	s_delay_alu instid0(VALU_DEP_1)
	v_cndmask_b32_e32 v4, v4, v5, vcc_lo
	v_cmp_gt_u32_e32 vcc_lo, 60, v3
	ds_bpermute_b32 v5, v7, v4
	v_cndmask_b32_e64 v7, 0, 4, vcc_lo
	v_cmp_lt_u32_e32 vcc_lo, v8, v6
	v_add_nc_u32_e32 v8, 4, v3
	s_delay_alu instid0(VALU_DEP_3) | instskip(SKIP_2) | instid1(VALU_DEP_1)
	v_add_lshl_u32 v7, v7, v3, 2
	s_wait_dscnt 0x0
	v_add_f32_e32 v5, v4, v5
	v_cndmask_b32_e32 v4, v4, v5, vcc_lo
	v_cmp_gt_u32_e32 vcc_lo, 56, v3
	ds_bpermute_b32 v5, v7, v4
	v_cndmask_b32_e64 v7, 0, 8, vcc_lo
	v_cmp_lt_u32_e32 vcc_lo, v8, v6
	v_add_nc_u32_e32 v8, 8, v3
	s_delay_alu instid0(VALU_DEP_3) | instskip(SKIP_2) | instid1(VALU_DEP_1)
	v_add_lshl_u32 v7, v7, v3, 2
	s_wait_dscnt 0x0
	v_add_f32_e32 v5, v4, v5
	v_cndmask_b32_e32 v4, v4, v5, vcc_lo
	v_cmp_gt_u32_e32 vcc_lo, 48, v3
	ds_bpermute_b32 v5, v7, v4
	v_cndmask_b32_e64 v7, 0, 16, vcc_lo
	v_cmp_lt_u32_e32 vcc_lo, v8, v6
	s_delay_alu instid0(VALU_DEP_2) | instskip(SKIP_2) | instid1(VALU_DEP_1)
	v_add_lshl_u32 v7, v7, v3, 2
	s_wait_dscnt 0x0
	v_add_f32_e32 v5, v4, v5
	v_cndmask_b32_e32 v5, v4, v5, vcc_lo
	ds_bpermute_b32 v4, v7, v5
	v_add_nc_u32_e32 v7, 16, v3
	s_delay_alu instid0(VALU_DEP_1) | instskip(SKIP_2) | instid1(VALU_DEP_1)
	v_cmp_lt_u32_e32 vcc_lo, v7, v6
	s_wait_dscnt 0x0
	v_dual_add_f32 v8, v5, v4 :: v_dual_lshlrev_b32 v4, 2, v3
	v_dual_cndmask_b32 v5, v5, v8, vcc_lo :: v_dual_bitop2_b32 v8, 32, v3 bitop3:0x54
	ds_bpermute_b32 v7, v4, v5 offset:128
	v_cmp_lt_u32_e32 vcc_lo, v8, v6
	s_wait_dscnt 0x0
	v_add_f32_e32 v7, v5, v7
	s_delay_alu instid0(VALU_DEP_1)
	v_cndmask_b32_e32 v5, v5, v7, vcc_lo
	v_cmpx_eq_u32_e32 0, v3
; %bb.7:
	v_lshrrev_b32_e32 v6, 4, v0
	s_delay_alu instid0(VALU_DEP_1)
	v_and_b32_e32 v6, 60, v6
	ds_store_b32 v6, v5
; %bb.8:
	s_or_b32 exec_lo, exec_lo, s3
	s_delay_alu instid0(SALU_CYCLE_1)
	s_mov_b32 s10, exec_lo
	s_wait_storecnt_dscnt 0x0
	s_barrier_signal -1
	s_barrier_wait -1
	v_cmpx_gt_u32_e32 16, v0
	s_cbranch_execz .LBB16_10
; %bb.9:
	ds_load_b32 v5, v4
	v_dual_add_nc_u32 v8, 63, v1 :: v_dual_bitop2_b32 v6, 15, v3 bitop3:0x40
	v_or_b32_e32 v4, 32, v4
	s_delay_alu instid0(VALU_DEP_2) | instskip(NEXT) | instid1(VALU_DEP_3)
	v_cmp_ne_u32_e32 vcc_lo, 15, v6
	v_dual_lshrrev_b32 v8, 6, v8 :: v_dual_add_nc_u32 v11, 2, v6
	v_cmp_gt_u32_e64 s3, 12, v6
	v_add_co_ci_u32_e64 v7, null, 0, v3, vcc_lo
	v_cmp_gt_u32_e32 vcc_lo, 14, v6
	s_delay_alu instid0(VALU_DEP_2)
	v_lshlrev_b32_e32 v7, 2, v7
	v_cndmask_b32_e64 v9, 0, 2, vcc_lo
	s_wait_dscnt 0x0
	ds_bpermute_b32 v7, v7, v5
	v_add_nc_u32_e32 v10, 1, v6
	v_add_lshl_u32 v9, v9, v3, 2
	s_wait_dscnt 0x0
	v_add_f32_e32 v7, v5, v7
	s_delay_alu instid0(VALU_DEP_3) | instskip(SKIP_2) | instid1(VALU_DEP_4)
	v_cmp_lt_u32_e32 vcc_lo, v10, v8
	v_cndmask_b32_e64 v10, 0, 4, s3
	v_cmp_lt_u32_e64 s3, v11, v8
	v_cndmask_b32_e32 v7, v5, v7, vcc_lo
	s_delay_alu instid0(VALU_DEP_3) | instskip(SKIP_3) | instid1(VALU_DEP_1)
	v_add_lshl_u32 v3, v10, v3, 2
	ds_bpermute_b32 v9, v9, v7
	s_wait_dscnt 0x0
	v_add_f32_e32 v9, v7, v9
	v_dual_cndmask_b32 v7, v7, v9, s3 :: v_dual_add_nc_u32 v9, 4, v6
	ds_bpermute_b32 v3, v3, v7
	v_cmp_lt_u32_e64 s3, v9, v8
	s_wait_dscnt 0x0
	v_add_f32_e32 v3, v7, v3
	s_delay_alu instid0(VALU_DEP_1) | instskip(SKIP_3) | instid1(VALU_DEP_1)
	v_cndmask_b32_e64 v3, v7, v3, s3
	ds_bpermute_b32 v4, v4, v3
	s_wait_dscnt 0x0
	v_dual_add_nc_u32 v6, 8, v6 :: v_dual_add_f32 v4, v3, v4
	v_cmp_lt_u32_e64 s3, v6, v8
	s_delay_alu instid0(VALU_DEP_1) | instskip(NEXT) | instid1(VALU_DEP_1)
	v_cndmask_b32_e64 v3, v3, v4, s3
	v_cndmask_b32_e32 v5, v5, v3, vcc_lo
.LBB16_10:
	s_or_b32 exec_lo, exec_lo, s10
	s_delay_alu instid0(SALU_CYCLE_1)
	s_mov_b32 s3, exec_lo
	v_cmpx_eq_u32_e32 0, v0
	s_cbranch_execz .LBB16_12
; %bb.11:
	s_cvt_f32_i32 s10, s11
	s_wait_xcnt 0x0
	s_load_b32 s0, s[0:1], 0x30
	s_delay_alu instid0(SALU_CYCLE_1) | instskip(SKIP_1) | instid1(VALU_DEP_2)
	v_div_scale_f32 v3, null, s10, s10, v5
	v_div_scale_f32 v7, vcc_lo, v5, s10, v5
	v_rcp_f32_e32 v4, v3
	v_nop
	s_delay_alu instid0(TRANS32_DEP_1) | instskip(NEXT) | instid1(VALU_DEP_1)
	v_fma_f32 v6, -v3, v4, 1.0
	v_fmac_f32_e32 v4, v6, v4
	s_delay_alu instid0(VALU_DEP_1) | instskip(NEXT) | instid1(VALU_DEP_1)
	v_mul_f32_e32 v6, v7, v4
	v_fma_f32 v8, -v3, v6, v7
	s_delay_alu instid0(VALU_DEP_1) | instskip(NEXT) | instid1(VALU_DEP_1)
	v_fmac_f32_e32 v6, v8, v4
	v_fma_f32 v3, -v3, v6, v7
	s_delay_alu instid0(VALU_DEP_1) | instskip(NEXT) | instid1(VALU_DEP_1)
	v_div_fmas_f32 v3, v3, v4, v6
	v_div_fixup_f32 v3, v3, s10, v5
	s_wait_kmcnt 0x0
	s_delay_alu instid0(VALU_DEP_1) | instskip(NEXT) | instid1(VALU_DEP_1)
	v_add_f32_e32 v3, s0, v3
	v_mul_f32_e32 v4, 0x4b800000, v3
	v_cmp_gt_f32_e32 vcc_lo, 0x800000, v3
	s_delay_alu instid0(VALU_DEP_2) | instskip(NEXT) | instid1(VALU_DEP_1)
	v_cndmask_b32_e32 v3, v3, v4, vcc_lo
	v_rsq_f32_e32 v3, v3
	v_nop
	s_delay_alu instid0(TRANS32_DEP_1) | instskip(NEXT) | instid1(VALU_DEP_1)
	v_mul_f32_e32 v4, 0x45800000, v3
	v_dual_cndmask_b32 v3, v3, v4 :: v_dual_mov_b32 v4, 0
	ds_store_b32 v4, v3 offset:64
.LBB16_12:
	s_or_b32 exec_lo, exec_lo, s3
	s_wait_dscnt 0x0
	s_barrier_signal -1
	s_barrier_wait -1
	s_wait_xcnt 0x0
	s_and_saveexec_b32 s0, s2
	s_cbranch_execz .LBB16_33
; %bb.13:
	s_wait_kmcnt 0x0
	s_load_b32 s0, s[6:7], 0x0
	v_mul_lo_u32 v9, s11, v2
	s_mov_b32 s2, 0
	s_mov_b32 s3, 0x43e00000
	s_wait_kmcnt 0x0
	v_div_scale_f32 v3, null, s0, s0, 1.0
	v_div_scale_f32 v6, vcc_lo, 1.0, s0, 1.0
	s_delay_alu instid0(VALU_DEP_2)
	v_rcp_f32_e32 v4, v3
	v_xor_b32_e32 v5, 0x80000000, v3
	s_delay_alu instid0(TRANS32_DEP_1) | instid1(VALU_DEP_1)
	v_fma_f32 v3, v5, v4, 1.0
	s_delay_alu instid0(VALU_DEP_1) | instskip(NEXT) | instid1(VALU_DEP_1)
	v_dual_fmac_f32 v4, v3, v4 :: v_dual_mov_b32 v3, 0
	v_mul_f32_e32 v7, v6, v4
	s_delay_alu instid0(VALU_DEP_1) | instskip(NEXT) | instid1(VALU_DEP_1)
	v_fma_f32 v8, v5, v7, v6
	v_fmac_f32_e32 v7, v8, v4
	ds_load_b32 v8, v3 offset:64
	v_fmac_f32_e32 v6, v5, v7
	s_delay_alu instid0(VALU_DEP_1) | instskip(NEXT) | instid1(VALU_DEP_1)
	v_div_fmas_f32 v2, v6, v4, v7
	v_div_fixup_f32 v10, v2, s0, 1.0
	s_branch .LBB16_15
.LBB16_14:                              ;   in Loop: Header=BB16_15 Depth=1
	s_or_b32 exec_lo, exec_lo, s0
	v_dual_mov_b32 v5, v3 :: v_dual_add_nc_u32 v0, v0, v1
	s_delay_alu instid0(VALU_DEP_1) | instskip(NEXT) | instid1(VALU_DEP_2)
	v_add_nc_u64_e32 v[4:5], s[8:9], v[4:5]
	v_cmp_le_i32_e32 vcc_lo, s11, v0
	s_or_b32 s2, vcc_lo, s2
	global_store_b8 v[4:5], v2, off
	s_wait_xcnt 0x0
	s_and_not1_b32 exec_lo, exec_lo, s2
	s_cbranch_execz .LBB16_33
.LBB16_15:                              ; =>This Inner Loop Header: Depth=1
	v_add_nc_u32_e32 v4, v9, v0
	global_load_u16 v2, v4, s[12:13] scale_offset
	global_load_u16 v5, v0, s[4:5] scale_offset
	s_wait_loadcnt 0x0
	v_dual_lshlrev_b32 v2, 16, v2 :: v_dual_lshlrev_b32 v5, 16, v5
	s_wait_dscnt 0x0
	s_delay_alu instid0(VALU_DEP_1) | instskip(NEXT) | instid1(VALU_DEP_1)
	v_mul_f32_e32 v2, v8, v2
	v_bfe_u32 v6, v2, 16, 1
	v_cmp_o_f32_e32 vcc_lo, v2, v2
	s_delay_alu instid0(VALU_DEP_2) | instskip(NEXT) | instid1(VALU_DEP_1)
	v_add3_u32 v6, v2, v6, 0x7fff
	v_and_b32_e32 v6, 0xffff0000, v6
	s_delay_alu instid0(VALU_DEP_1) | instskip(NEXT) | instid1(VALU_DEP_1)
	v_cndmask_b32_e32 v2, 0x7fc00000, v6, vcc_lo
	v_mul_f32_e32 v2, v2, v5
	s_delay_alu instid0(VALU_DEP_1) | instskip(SKIP_1) | instid1(VALU_DEP_2)
	v_bfe_u32 v5, v2, 16, 1
	v_cmp_o_f32_e32 vcc_lo, v2, v2
	v_add3_u32 v5, v2, v5, 0x7fff
	s_delay_alu instid0(VALU_DEP_1) | instskip(NEXT) | instid1(VALU_DEP_1)
	v_and_b32_e32 v5, 0xffff0000, v5
	v_cndmask_b32_e32 v2, 0x7fc00000, v5, vcc_lo
	s_delay_alu instid0(VALU_DEP_1) | instskip(NEXT) | instid1(VALU_DEP_1)
	v_mul_f32_e32 v2, v10, v2
	v_minmax_num_f32 v6, v2, s3, 0xc3e00000
	s_delay_alu instid0(VALU_DEP_1) | instskip(SKIP_1) | instid1(VALU_DEP_2)
	v_and_b32_e32 v2, 0x7f800000, v6
	v_lshrrev_b32_e32 v5, 24, v6
	v_cmp_ne_u64_e32 vcc_lo, 0x7f800000, v[2:3]
                                        ; implicit-def: $vgpr2
	s_wait_xcnt 0x0
	s_and_saveexec_b32 s0, vcc_lo
	s_delay_alu instid0(SALU_CYCLE_1)
	s_xor_b32 s6, exec_lo, s0
	s_cbranch_execz .LBB16_31
; %bb.16:                               ;   in Loop: Header=BB16_15 Depth=1
	v_and_b32_e32 v2, 0x7fffffff, v6
	v_and_b32_e32 v5, 0x80, v5
	s_delay_alu instid0(VALU_DEP_2) | instskip(SKIP_1) | instid1(SALU_CYCLE_1)
	v_cmp_gt_u64_e32 vcc_lo, 0x43e00001, v[2:3]
                                        ; implicit-def: $vgpr2
	s_and_saveexec_b32 s0, vcc_lo
	s_xor_b32 s7, exec_lo, s0
	s_cbranch_execz .LBB16_28
; %bb.17:                               ;   in Loop: Header=BB16_15 Depth=1
	v_mov_b32_e32 v2, 0
	s_mov_b32 s10, exec_lo
	v_cmpx_ne_u32_e32 0, v6
	s_cbranch_execz .LBB16_27
; %bb.18:                               ;   in Loop: Header=BB16_15 Depth=1
	v_bfe_u32 v11, v6, 23, 8
	v_and_b32_e32 v6, 0x7fffff, v6
	s_delay_alu instid0(VALU_DEP_2) | instskip(SKIP_2) | instid1(VALU_DEP_3)
	v_sub_nc_u32_e64 v2, 0x79, v11 clamp
	v_cmp_eq_u32_e32 vcc_lo, 0, v11
	v_add_nc_u32_e32 v11, 0xffffff88, v11
	v_cndmask_b32_e64 v16, v2, 0x78, vcc_lo
	v_or_b32_e32 v2, 0x800000, v6
	s_delay_alu instid0(VALU_DEP_1) | instskip(NEXT) | instid1(VALU_DEP_1)
	v_dual_cndmask_b32 v2, v2, v6 :: v_dual_add_nc_u32 v7, 20, v16
	v_lshlrev_b64_e64 v[6:7], v7, -1
	s_delay_alu instid0(VALU_DEP_2) | instskip(SKIP_1) | instid1(VALU_DEP_1)
	v_lshrrev_b64 v[14:15], v16, v[2:3]
	v_add_nc_u32_e32 v12, 19, v16
	v_lshlrev_b64_e64 v[12:13], v12, 1
	s_delay_alu instid0(VALU_DEP_4) | instskip(SKIP_2) | instid1(VALU_DEP_2)
	v_bfi_b32 v7, v7, 0, 0
	v_bfi_b32 v6, v6, 0, v2
	v_and_b32_e32 v2, 0x100000, v14
	v_cmp_eq_u64_e64 s0, v[6:7], v[12:13]
	s_delay_alu instid0(VALU_DEP_2) | instskip(SKIP_3) | instid1(VALU_DEP_1)
	v_cmp_eq_u64_e64 s1, 0, v[2:3]
	v_cndmask_b32_e64 v2, v11, 0xffffff89, vcc_lo
	v_lshrrev_b32_e32 v6, 23, v14
                                        ; implicit-def: $vgpr11
	s_and_b32 vcc_lo, s1, s0
	v_add3_u32 v12, v2, v16, v6
	v_subrev_co_ci_u32_e64 v7, null, 0, v14, vcc_lo
	s_mov_b32 s0, exec_lo
	v_and_b32_e32 v2, 0xfffff, v7
	v_add_nc_u32_e32 v13, -1, v12
                                        ; implicit-def: $vgpr6_vgpr7
	s_delay_alu instid0(VALU_DEP_2) | instskip(NEXT) | instid1(VALU_DEP_2)
	v_add_nc_u32_e32 v2, v2, v14
	v_cmpx_ne_u32_e32 0, v13
	s_xor_b32 s0, exec_lo, s0
	s_cbranch_execz .LBB16_20
; %bb.19:                               ;   in Loop: Header=BB16_15 Depth=1
	s_delay_alu instid0(VALU_DEP_2) | instskip(SKIP_2) | instid1(VALU_DEP_2)
	v_and_b32_e32 v14, 0x1000000, v2
	v_mov_b32_e32 v15, v3
	v_bfe_u32 v6, v2, 24, 1
	v_cmp_eq_u64_e32 vcc_lo, 0, v[14:15]
	s_delay_alu instid0(VALU_DEP_2)
	v_lshrrev_b64 v[6:7], v6, v[2:3]
	v_cndmask_b32_e32 v11, v12, v13, vcc_lo
.LBB16_20:                              ;   in Loop: Header=BB16_15 Depth=1
	s_and_not1_saveexec_b32 s0, s0
; %bb.21:                               ;   in Loop: Header=BB16_15 Depth=1
	v_mov_b64_e32 v[6:7], v[2:3]
	v_bfe_u32 v11, v2, 23, 1
; %bb.22:                               ;   in Loop: Header=BB16_15 Depth=1
	s_or_b32 exec_lo, exec_lo, s0
	s_delay_alu instid0(VALU_DEP_2) | instskip(NEXT) | instid1(VALU_DEP_2)
	v_lshrrev_b64 v[6:7], 20, v[6:7]
	v_cmp_gt_i32_e32 vcc_lo, 16, v11
	v_cmp_ne_u32_e64 s0, 0, v11
                                        ; implicit-def: $vgpr2
	s_delay_alu instid0(VALU_DEP_3) | instskip(NEXT) | instid1(VALU_DEP_1)
	v_dual_cndmask_b32 v7, 0, v7 :: v_dual_cndmask_b32 v6, 7, v6
	v_cmp_ne_u64_e32 vcc_lo, 0, v[6:7]
	s_or_b32 s0, s0, vcc_lo
	s_delay_alu instid0(SALU_CYCLE_1) | instskip(NEXT) | instid1(SALU_CYCLE_1)
	s_and_saveexec_b32 s1, s0
	s_xor_b32 s0, exec_lo, s1
; %bb.23:                               ;   in Loop: Header=BB16_15 Depth=1
	v_min_i32_e32 v2, 15, v11
	s_delay_alu instid0(VALU_DEP_1) | instskip(NEXT) | instid1(VALU_DEP_1)
	v_lshl_or_b32 v2, v2, 3, v5
                                        ; implicit-def: $vgpr5
	v_and_or_b32 v2, v6, 7, v2
; %bb.24:                               ;   in Loop: Header=BB16_15 Depth=1
	s_and_not1_saveexec_b32 s0, s0
; %bb.25:                               ;   in Loop: Header=BB16_15 Depth=1
	v_mov_b32_e32 v2, v5
; %bb.26:                               ;   in Loop: Header=BB16_15 Depth=1
	s_or_b32 exec_lo, exec_lo, s0
.LBB16_27:                              ;   in Loop: Header=BB16_15 Depth=1
	s_delay_alu instid0(SALU_CYCLE_1)
	s_or_b32 exec_lo, exec_lo, s10
                                        ; implicit-def: $vgpr5
.LBB16_28:                              ;   in Loop: Header=BB16_15 Depth=1
	s_and_not1_saveexec_b32 s0, s7
; %bb.29:                               ;   in Loop: Header=BB16_15 Depth=1
	v_or_b32_e32 v2, 0x7e, v5
; %bb.30:                               ;   in Loop: Header=BB16_15 Depth=1
	s_or_b32 exec_lo, exec_lo, s0
                                        ; implicit-def: $vgpr5
.LBB16_31:                              ;   in Loop: Header=BB16_15 Depth=1
	s_and_not1_saveexec_b32 s0, s6
	s_cbranch_execz .LBB16_14
; %bb.32:                               ;   in Loop: Header=BB16_15 Depth=1
	v_or_b32_e32 v2, 0x7f, v5
	s_branch .LBB16_14
.LBB16_33:
	s_endpgm
	.section	.rodata,"a",@progbits
	.p2align	6, 0x0
	.amdhsa_kernel _ZN4vllm42fused_add_rms_norm_static_fp8_quant_kernelIN3c108BFloat16ELi0ENS1_13Float8_e4m3fnEEENSt9enable_ifIXooeqT0_Li0Entsr12_typeConvertIT_EE6existsEvE4typeEPT1_PS5_iSA_PKS5_PKffii
		.amdhsa_group_segment_fixed_size 68
		.amdhsa_private_segment_fixed_size 0
		.amdhsa_kernarg_size 320
		.amdhsa_user_sgpr_count 2
		.amdhsa_user_sgpr_dispatch_ptr 0
		.amdhsa_user_sgpr_queue_ptr 0
		.amdhsa_user_sgpr_kernarg_segment_ptr 1
		.amdhsa_user_sgpr_dispatch_id 0
		.amdhsa_user_sgpr_kernarg_preload_length 0
		.amdhsa_user_sgpr_kernarg_preload_offset 0
		.amdhsa_user_sgpr_private_segment_size 0
		.amdhsa_wavefront_size32 1
		.amdhsa_uses_dynamic_stack 0
		.amdhsa_enable_private_segment 0
		.amdhsa_system_sgpr_workgroup_id_x 1
		.amdhsa_system_sgpr_workgroup_id_y 0
		.amdhsa_system_sgpr_workgroup_id_z 0
		.amdhsa_system_sgpr_workgroup_info 0
		.amdhsa_system_vgpr_workitem_id 0
		.amdhsa_next_free_vgpr 17
		.amdhsa_next_free_sgpr 19
		.amdhsa_named_barrier_count 0
		.amdhsa_reserve_vcc 1
		.amdhsa_float_round_mode_32 0
		.amdhsa_float_round_mode_16_64 0
		.amdhsa_float_denorm_mode_32 3
		.amdhsa_float_denorm_mode_16_64 3
		.amdhsa_fp16_overflow 0
		.amdhsa_memory_ordered 1
		.amdhsa_forward_progress 1
		.amdhsa_inst_pref_size 18
		.amdhsa_round_robin_scheduling 0
		.amdhsa_exception_fp_ieee_invalid_op 0
		.amdhsa_exception_fp_denorm_src 0
		.amdhsa_exception_fp_ieee_div_zero 0
		.amdhsa_exception_fp_ieee_overflow 0
		.amdhsa_exception_fp_ieee_underflow 0
		.amdhsa_exception_fp_ieee_inexact 0
		.amdhsa_exception_int_div_zero 0
	.end_amdhsa_kernel
	.section	.text._ZN4vllm42fused_add_rms_norm_static_fp8_quant_kernelIN3c108BFloat16ELi0ENS1_13Float8_e4m3fnEEENSt9enable_ifIXooeqT0_Li0Entsr12_typeConvertIT_EE6existsEvE4typeEPT1_PS5_iSA_PKS5_PKffii,"axG",@progbits,_ZN4vllm42fused_add_rms_norm_static_fp8_quant_kernelIN3c108BFloat16ELi0ENS1_13Float8_e4m3fnEEENSt9enable_ifIXooeqT0_Li0Entsr12_typeConvertIT_EE6existsEvE4typeEPT1_PS5_iSA_PKS5_PKffii,comdat
.Lfunc_end16:
	.size	_ZN4vllm42fused_add_rms_norm_static_fp8_quant_kernelIN3c108BFloat16ELi0ENS1_13Float8_e4m3fnEEENSt9enable_ifIXooeqT0_Li0Entsr12_typeConvertIT_EE6existsEvE4typeEPT1_PS5_iSA_PKS5_PKffii, .Lfunc_end16-_ZN4vllm42fused_add_rms_norm_static_fp8_quant_kernelIN3c108BFloat16ELi0ENS1_13Float8_e4m3fnEEENSt9enable_ifIXooeqT0_Li0Entsr12_typeConvertIT_EE6existsEvE4typeEPT1_PS5_iSA_PKS5_PKffii
                                        ; -- End function
	.set _ZN4vllm42fused_add_rms_norm_static_fp8_quant_kernelIN3c108BFloat16ELi0ENS1_13Float8_e4m3fnEEENSt9enable_ifIXooeqT0_Li0Entsr12_typeConvertIT_EE6existsEvE4typeEPT1_PS5_iSA_PKS5_PKffii.num_vgpr, 17
	.set _ZN4vllm42fused_add_rms_norm_static_fp8_quant_kernelIN3c108BFloat16ELi0ENS1_13Float8_e4m3fnEEENSt9enable_ifIXooeqT0_Li0Entsr12_typeConvertIT_EE6existsEvE4typeEPT1_PS5_iSA_PKS5_PKffii.num_agpr, 0
	.set _ZN4vllm42fused_add_rms_norm_static_fp8_quant_kernelIN3c108BFloat16ELi0ENS1_13Float8_e4m3fnEEENSt9enable_ifIXooeqT0_Li0Entsr12_typeConvertIT_EE6existsEvE4typeEPT1_PS5_iSA_PKS5_PKffii.numbered_sgpr, 19
	.set _ZN4vllm42fused_add_rms_norm_static_fp8_quant_kernelIN3c108BFloat16ELi0ENS1_13Float8_e4m3fnEEENSt9enable_ifIXooeqT0_Li0Entsr12_typeConvertIT_EE6existsEvE4typeEPT1_PS5_iSA_PKS5_PKffii.num_named_barrier, 0
	.set _ZN4vllm42fused_add_rms_norm_static_fp8_quant_kernelIN3c108BFloat16ELi0ENS1_13Float8_e4m3fnEEENSt9enable_ifIXooeqT0_Li0Entsr12_typeConvertIT_EE6existsEvE4typeEPT1_PS5_iSA_PKS5_PKffii.private_seg_size, 0
	.set _ZN4vllm42fused_add_rms_norm_static_fp8_quant_kernelIN3c108BFloat16ELi0ENS1_13Float8_e4m3fnEEENSt9enable_ifIXooeqT0_Li0Entsr12_typeConvertIT_EE6existsEvE4typeEPT1_PS5_iSA_PKS5_PKffii.uses_vcc, 1
	.set _ZN4vllm42fused_add_rms_norm_static_fp8_quant_kernelIN3c108BFloat16ELi0ENS1_13Float8_e4m3fnEEENSt9enable_ifIXooeqT0_Li0Entsr12_typeConvertIT_EE6existsEvE4typeEPT1_PS5_iSA_PKS5_PKffii.uses_flat_scratch, 0
	.set _ZN4vllm42fused_add_rms_norm_static_fp8_quant_kernelIN3c108BFloat16ELi0ENS1_13Float8_e4m3fnEEENSt9enable_ifIXooeqT0_Li0Entsr12_typeConvertIT_EE6existsEvE4typeEPT1_PS5_iSA_PKS5_PKffii.has_dyn_sized_stack, 0
	.set _ZN4vllm42fused_add_rms_norm_static_fp8_quant_kernelIN3c108BFloat16ELi0ENS1_13Float8_e4m3fnEEENSt9enable_ifIXooeqT0_Li0Entsr12_typeConvertIT_EE6existsEvE4typeEPT1_PS5_iSA_PKS5_PKffii.has_recursion, 0
	.set _ZN4vllm42fused_add_rms_norm_static_fp8_quant_kernelIN3c108BFloat16ELi0ENS1_13Float8_e4m3fnEEENSt9enable_ifIXooeqT0_Li0Entsr12_typeConvertIT_EE6existsEvE4typeEPT1_PS5_iSA_PKS5_PKffii.has_indirect_call, 0
	.section	.AMDGPU.csdata,"",@progbits
; Kernel info:
; codeLenInByte = 2216
; TotalNumSgprs: 21
; NumVgprs: 17
; ScratchSize: 0
; MemoryBound: 0
; FloatMode: 240
; IeeeMode: 1
; LDSByteSize: 68 bytes/workgroup (compile time only)
; SGPRBlocks: 0
; VGPRBlocks: 1
; NumSGPRsForWavesPerEU: 21
; NumVGPRsForWavesPerEU: 17
; NamedBarCnt: 0
; Occupancy: 16
; WaveLimiterHint : 0
; COMPUTE_PGM_RSRC2:SCRATCH_EN: 0
; COMPUTE_PGM_RSRC2:USER_SGPR: 2
; COMPUTE_PGM_RSRC2:TRAP_HANDLER: 0
; COMPUTE_PGM_RSRC2:TGID_X_EN: 1
; COMPUTE_PGM_RSRC2:TGID_Y_EN: 0
; COMPUTE_PGM_RSRC2:TGID_Z_EN: 0
; COMPUTE_PGM_RSRC2:TIDIG_COMP_CNT: 0
	.section	.text._ZN4vllm42fused_add_rms_norm_static_fp8_quant_kernelIN3c108BFloat16ELi0ENS1_15Float8_e4m3fnuzEEENSt9enable_ifIXooeqT0_Li0Entsr12_typeConvertIT_EE6existsEvE4typeEPT1_PS5_iSA_PKS5_PKffii,"axG",@progbits,_ZN4vllm42fused_add_rms_norm_static_fp8_quant_kernelIN3c108BFloat16ELi0ENS1_15Float8_e4m3fnuzEEENSt9enable_ifIXooeqT0_Li0Entsr12_typeConvertIT_EE6existsEvE4typeEPT1_PS5_iSA_PKS5_PKffii,comdat
	.protected	_ZN4vllm42fused_add_rms_norm_static_fp8_quant_kernelIN3c108BFloat16ELi0ENS1_15Float8_e4m3fnuzEEENSt9enable_ifIXooeqT0_Li0Entsr12_typeConvertIT_EE6existsEvE4typeEPT1_PS5_iSA_PKS5_PKffii ; -- Begin function _ZN4vllm42fused_add_rms_norm_static_fp8_quant_kernelIN3c108BFloat16ELi0ENS1_15Float8_e4m3fnuzEEENSt9enable_ifIXooeqT0_Li0Entsr12_typeConvertIT_EE6existsEvE4typeEPT1_PS5_iSA_PKS5_PKffii
	.globl	_ZN4vllm42fused_add_rms_norm_static_fp8_quant_kernelIN3c108BFloat16ELi0ENS1_15Float8_e4m3fnuzEEENSt9enable_ifIXooeqT0_Li0Entsr12_typeConvertIT_EE6existsEvE4typeEPT1_PS5_iSA_PKS5_PKffii
	.p2align	8
	.type	_ZN4vllm42fused_add_rms_norm_static_fp8_quant_kernelIN3c108BFloat16ELi0ENS1_15Float8_e4m3fnuzEEENSt9enable_ifIXooeqT0_Li0Entsr12_typeConvertIT_EE6existsEvE4typeEPT1_PS5_iSA_PKS5_PKffii,@function
_ZN4vllm42fused_add_rms_norm_static_fp8_quant_kernelIN3c108BFloat16ELi0ENS1_15Float8_e4m3fnuzEEENSt9enable_ifIXooeqT0_Li0Entsr12_typeConvertIT_EE6existsEvE4typeEPT1_PS5_iSA_PKS5_PKffii: ; @_ZN4vllm42fused_add_rms_norm_static_fp8_quant_kernelIN3c108BFloat16ELi0ENS1_15Float8_e4m3fnuzEEENSt9enable_ifIXooeqT0_Li0Entsr12_typeConvertIT_EE6existsEvE4typeEPT1_PS5_iSA_PKS5_PKffii
; %bb.0:
	s_clause 0x1
	s_load_b32 s11, s[0:1], 0x38
	s_load_b64 s[12:13], s[0:1], 0x18
	s_getreg_b32 s14, hwreg(HW_REG_IB_STS2, 6, 4)
	s_mov_b32 s3, exec_lo
                                        ; implicit-def: $sgpr8
                                        ; implicit-def: $sgpr9
	s_wait_kmcnt 0x0
	v_cmp_gt_i32_e64 s2, s11, v0
	v_cmpx_le_i32_e64 s11, v0
	s_xor_b32 s3, exec_lo, s3
	s_cbranch_execz .LBB17_2
; %bb.1:
	s_load_b32 s4, s[0:1], 0x4c
	s_bfe_u32 s5, ttmp6, 0x4000c
	s_and_b32 s6, ttmp6, 15
	s_add_co_i32 s5, s5, 1
	s_delay_alu instid0(SALU_CYCLE_1) | instskip(NEXT) | instid1(SALU_CYCLE_1)
	s_mul_i32 s5, ttmp9, s5
	s_add_co_i32 s6, s6, s5
	s_cmp_eq_u32 s14, 0
	s_cselect_b32 s8, ttmp9, s6
	s_wait_kmcnt 0x0
	s_and_b32 s9, s4, 0xffff
.LBB17_2:
	s_or_saveexec_b32 s3, s3
	s_load_b128 s[4:7], s[0:1], 0x20
	v_dual_mov_b32 v4, 0 :: v_dual_mov_b32 v2, s8
	v_mov_b32_e32 v1, s9
	s_xor_b32 exec_lo, exec_lo, s3
	s_cbranch_execz .LBB17_6
; %bb.3:
	s_clause 0x1
	s_load_b96 s[8:10], s[0:1], 0x8
	s_load_b32 s18, s[0:1], 0x4c
	s_bfe_u32 s15, ttmp6, 0x4000c
	s_and_b32 s16, ttmp6, 15
	s_add_co_i32 s15, s15, 1
	v_dual_mov_b32 v4, 0 :: v_dual_mov_b32 v1, v0
	s_mul_i32 s17, ttmp9, s15
	s_mov_b32 s15, 0
	s_add_co_i32 s16, s16, s17
	s_cmp_eq_u32 s14, 0
	s_cselect_b32 s14, ttmp9, s16
	s_delay_alu instid0(SALU_CYCLE_1)
	s_mul_i32 s16, s11, s14
	s_wait_kmcnt 0x0
	s_mul_i32 s17, s10, s14
	s_and_b32 s10, s18, 0xffff
.LBB17_4:                               ; =>This Inner Loop Header: Depth=1
	v_dual_add_nc_u32 v2, s17, v1 :: v_dual_add_nc_u32 v3, s16, v1
	global_load_u16 v5, v2, s[8:9] scale_offset
	global_load_u16 v6, v3, s[12:13] scale_offset
	s_wait_loadcnt 0x0
	s_wait_xcnt 0x1
	v_dual_lshlrev_b32 v2, 16, v5 :: v_dual_lshlrev_b32 v5, 16, v6
	s_delay_alu instid0(VALU_DEP_1) | instskip(NEXT) | instid1(VALU_DEP_1)
	v_add_f32_e32 v2, v5, v2
	v_bfe_u32 v5, v2, 16, 1
	s_delay_alu instid0(VALU_DEP_1) | instskip(NEXT) | instid1(VALU_DEP_1)
	v_add3_u32 v5, v2, v5, 0x7fff
	v_lshrrev_b32_e32 v5, 16, v5
	v_cmp_o_f32_e32 vcc_lo, v2, v2
	s_delay_alu instid0(VALU_DEP_2) | instskip(NEXT) | instid1(VALU_DEP_1)
	v_cndmask_b32_e32 v2, 0x7fc0, v5, vcc_lo
	v_dual_add_nc_u32 v1, s10, v1 :: v_dual_lshlrev_b32 v5, 16, v2
	s_delay_alu instid0(VALU_DEP_1)
	v_cmp_le_i32_e32 vcc_lo, s11, v1
	global_store_b16 v3, v2, s[12:13] scale_offset
	v_fmac_f32_e32 v4, v5, v5
	s_or_b32 s15, vcc_lo, s15
	s_wait_xcnt 0x0
	s_and_not1_b32 exec_lo, exec_lo, s15
	s_cbranch_execnz .LBB17_4
; %bb.5:
	s_or_b32 exec_lo, exec_lo, s15
	v_dual_mov_b32 v2, s14 :: v_dual_mov_b32 v1, s10
.LBB17_6:
	s_or_b32 exec_lo, exec_lo, s3
	v_mbcnt_lo_u32_b32 v3, -1, 0
	v_and_b32_e32 v6, 0x3c0, v0
	s_load_b64 s[8:9], s[0:1], 0x0
	s_mov_b32 s3, exec_lo
	s_delay_alu instid0(VALU_DEP_2) | instskip(NEXT) | instid1(VALU_DEP_2)
	v_cmp_ne_u32_e32 vcc_lo, 63, v3
	v_sub_nc_u32_e64 v6, v1, v6 clamp
	v_add_nc_u32_e32 v8, 1, v3
	v_add_co_ci_u32_e64 v5, null, 0, v3, vcc_lo
	v_cmp_gt_u32_e32 vcc_lo, 62, v3
	s_delay_alu instid0(VALU_DEP_2)
	v_lshlrev_b32_e32 v5, 2, v5
	v_cndmask_b32_e64 v7, 0, 2, vcc_lo
	v_cmp_lt_u32_e32 vcc_lo, v8, v6
	v_add_nc_u32_e32 v8, 2, v3
	ds_bpermute_b32 v5, v5, v4
	v_add_lshl_u32 v7, v7, v3, 2
	s_wait_dscnt 0x0
	v_add_f32_e32 v5, v4, v5
	s_delay_alu instid0(VALU_DEP_1)
	v_cndmask_b32_e32 v4, v4, v5, vcc_lo
	v_cmp_gt_u32_e32 vcc_lo, 60, v3
	ds_bpermute_b32 v5, v7, v4
	v_cndmask_b32_e64 v7, 0, 4, vcc_lo
	v_cmp_lt_u32_e32 vcc_lo, v8, v6
	v_add_nc_u32_e32 v8, 4, v3
	s_delay_alu instid0(VALU_DEP_3) | instskip(SKIP_2) | instid1(VALU_DEP_1)
	v_add_lshl_u32 v7, v7, v3, 2
	s_wait_dscnt 0x0
	v_add_f32_e32 v5, v4, v5
	v_cndmask_b32_e32 v4, v4, v5, vcc_lo
	v_cmp_gt_u32_e32 vcc_lo, 56, v3
	ds_bpermute_b32 v5, v7, v4
	v_cndmask_b32_e64 v7, 0, 8, vcc_lo
	v_cmp_lt_u32_e32 vcc_lo, v8, v6
	v_add_nc_u32_e32 v8, 8, v3
	s_delay_alu instid0(VALU_DEP_3) | instskip(SKIP_2) | instid1(VALU_DEP_1)
	v_add_lshl_u32 v7, v7, v3, 2
	s_wait_dscnt 0x0
	v_add_f32_e32 v5, v4, v5
	v_cndmask_b32_e32 v4, v4, v5, vcc_lo
	v_cmp_gt_u32_e32 vcc_lo, 48, v3
	ds_bpermute_b32 v5, v7, v4
	v_cndmask_b32_e64 v7, 0, 16, vcc_lo
	v_cmp_lt_u32_e32 vcc_lo, v8, v6
	s_delay_alu instid0(VALU_DEP_2) | instskip(SKIP_2) | instid1(VALU_DEP_1)
	v_add_lshl_u32 v7, v7, v3, 2
	s_wait_dscnt 0x0
	v_add_f32_e32 v5, v4, v5
	v_cndmask_b32_e32 v5, v4, v5, vcc_lo
	ds_bpermute_b32 v4, v7, v5
	v_add_nc_u32_e32 v7, 16, v3
	s_delay_alu instid0(VALU_DEP_1) | instskip(SKIP_2) | instid1(VALU_DEP_1)
	v_cmp_lt_u32_e32 vcc_lo, v7, v6
	s_wait_dscnt 0x0
	v_dual_add_f32 v8, v5, v4 :: v_dual_lshlrev_b32 v4, 2, v3
	v_dual_cndmask_b32 v5, v5, v8, vcc_lo :: v_dual_bitop2_b32 v8, 32, v3 bitop3:0x54
	ds_bpermute_b32 v7, v4, v5 offset:128
	v_cmp_lt_u32_e32 vcc_lo, v8, v6
	s_wait_dscnt 0x0
	v_add_f32_e32 v7, v5, v7
	s_delay_alu instid0(VALU_DEP_1)
	v_cndmask_b32_e32 v5, v5, v7, vcc_lo
	v_cmpx_eq_u32_e32 0, v3
; %bb.7:
	v_lshrrev_b32_e32 v6, 4, v0
	s_delay_alu instid0(VALU_DEP_1)
	v_and_b32_e32 v6, 60, v6
	ds_store_b32 v6, v5
; %bb.8:
	s_or_b32 exec_lo, exec_lo, s3
	s_delay_alu instid0(SALU_CYCLE_1)
	s_mov_b32 s10, exec_lo
	s_wait_storecnt_dscnt 0x0
	s_barrier_signal -1
	s_barrier_wait -1
	v_cmpx_gt_u32_e32 16, v0
	s_cbranch_execz .LBB17_10
; %bb.9:
	ds_load_b32 v5, v4
	v_dual_add_nc_u32 v8, 63, v1 :: v_dual_bitop2_b32 v6, 15, v3 bitop3:0x40
	v_or_b32_e32 v4, 32, v4
	s_delay_alu instid0(VALU_DEP_2) | instskip(NEXT) | instid1(VALU_DEP_3)
	v_cmp_ne_u32_e32 vcc_lo, 15, v6
	v_dual_lshrrev_b32 v8, 6, v8 :: v_dual_add_nc_u32 v11, 2, v6
	v_cmp_gt_u32_e64 s3, 12, v6
	v_add_co_ci_u32_e64 v7, null, 0, v3, vcc_lo
	v_cmp_gt_u32_e32 vcc_lo, 14, v6
	s_delay_alu instid0(VALU_DEP_2)
	v_lshlrev_b32_e32 v7, 2, v7
	v_cndmask_b32_e64 v9, 0, 2, vcc_lo
	s_wait_dscnt 0x0
	ds_bpermute_b32 v7, v7, v5
	v_add_nc_u32_e32 v10, 1, v6
	v_add_lshl_u32 v9, v9, v3, 2
	s_wait_dscnt 0x0
	v_add_f32_e32 v7, v5, v7
	s_delay_alu instid0(VALU_DEP_3) | instskip(SKIP_2) | instid1(VALU_DEP_4)
	v_cmp_lt_u32_e32 vcc_lo, v10, v8
	v_cndmask_b32_e64 v10, 0, 4, s3
	v_cmp_lt_u32_e64 s3, v11, v8
	v_cndmask_b32_e32 v7, v5, v7, vcc_lo
	s_delay_alu instid0(VALU_DEP_3) | instskip(SKIP_3) | instid1(VALU_DEP_1)
	v_add_lshl_u32 v3, v10, v3, 2
	ds_bpermute_b32 v9, v9, v7
	s_wait_dscnt 0x0
	v_add_f32_e32 v9, v7, v9
	v_dual_cndmask_b32 v7, v7, v9, s3 :: v_dual_add_nc_u32 v9, 4, v6
	ds_bpermute_b32 v3, v3, v7
	v_cmp_lt_u32_e64 s3, v9, v8
	s_wait_dscnt 0x0
	v_add_f32_e32 v3, v7, v3
	s_delay_alu instid0(VALU_DEP_1) | instskip(SKIP_3) | instid1(VALU_DEP_1)
	v_cndmask_b32_e64 v3, v7, v3, s3
	ds_bpermute_b32 v4, v4, v3
	s_wait_dscnt 0x0
	v_dual_add_nc_u32 v6, 8, v6 :: v_dual_add_f32 v4, v3, v4
	v_cmp_lt_u32_e64 s3, v6, v8
	s_delay_alu instid0(VALU_DEP_1) | instskip(NEXT) | instid1(VALU_DEP_1)
	v_cndmask_b32_e64 v3, v3, v4, s3
	v_cndmask_b32_e32 v5, v5, v3, vcc_lo
.LBB17_10:
	s_or_b32 exec_lo, exec_lo, s10
	s_delay_alu instid0(SALU_CYCLE_1)
	s_mov_b32 s3, exec_lo
	v_cmpx_eq_u32_e32 0, v0
	s_cbranch_execz .LBB17_12
; %bb.11:
	s_cvt_f32_i32 s10, s11
	s_wait_xcnt 0x0
	s_load_b32 s0, s[0:1], 0x30
	s_delay_alu instid0(SALU_CYCLE_1) | instskip(SKIP_1) | instid1(VALU_DEP_2)
	v_div_scale_f32 v3, null, s10, s10, v5
	v_div_scale_f32 v7, vcc_lo, v5, s10, v5
	v_rcp_f32_e32 v4, v3
	v_nop
	s_delay_alu instid0(TRANS32_DEP_1) | instskip(NEXT) | instid1(VALU_DEP_1)
	v_fma_f32 v6, -v3, v4, 1.0
	v_fmac_f32_e32 v4, v6, v4
	s_delay_alu instid0(VALU_DEP_1) | instskip(NEXT) | instid1(VALU_DEP_1)
	v_mul_f32_e32 v6, v7, v4
	v_fma_f32 v8, -v3, v6, v7
	s_delay_alu instid0(VALU_DEP_1) | instskip(NEXT) | instid1(VALU_DEP_1)
	v_fmac_f32_e32 v6, v8, v4
	v_fma_f32 v3, -v3, v6, v7
	s_delay_alu instid0(VALU_DEP_1) | instskip(NEXT) | instid1(VALU_DEP_1)
	v_div_fmas_f32 v3, v3, v4, v6
	v_div_fixup_f32 v3, v3, s10, v5
	s_wait_kmcnt 0x0
	s_delay_alu instid0(VALU_DEP_1) | instskip(NEXT) | instid1(VALU_DEP_1)
	v_add_f32_e32 v3, s0, v3
	v_mul_f32_e32 v4, 0x4b800000, v3
	v_cmp_gt_f32_e32 vcc_lo, 0x800000, v3
	s_delay_alu instid0(VALU_DEP_2) | instskip(NEXT) | instid1(VALU_DEP_1)
	v_cndmask_b32_e32 v3, v3, v4, vcc_lo
	v_rsq_f32_e32 v3, v3
	v_nop
	s_delay_alu instid0(TRANS32_DEP_1) | instskip(NEXT) | instid1(VALU_DEP_1)
	v_mul_f32_e32 v4, 0x45800000, v3
	v_dual_cndmask_b32 v3, v3, v4 :: v_dual_mov_b32 v4, 0
	ds_store_b32 v4, v3 offset:64
.LBB17_12:
	s_or_b32 exec_lo, exec_lo, s3
	s_wait_dscnt 0x0
	s_barrier_signal -1
	s_barrier_wait -1
	s_wait_xcnt 0x0
	s_and_saveexec_b32 s0, s2
	s_cbranch_execz .LBB17_27
; %bb.13:
	s_wait_kmcnt 0x0
	s_load_b32 s0, s[6:7], 0x0
	v_mul_lo_u32 v9, s11, v2
	s_mov_b32 s2, 0
	s_mov_b32 s3, 0x43600000
	s_wait_kmcnt 0x0
	v_div_scale_f32 v3, null, s0, s0, 1.0
	v_div_scale_f32 v6, vcc_lo, 1.0, s0, 1.0
	s_delay_alu instid0(VALU_DEP_2)
	v_rcp_f32_e32 v4, v3
	v_xor_b32_e32 v5, 0x80000000, v3
	s_delay_alu instid0(TRANS32_DEP_1) | instid1(VALU_DEP_1)
	v_fma_f32 v3, v5, v4, 1.0
	s_delay_alu instid0(VALU_DEP_1) | instskip(NEXT) | instid1(VALU_DEP_1)
	v_dual_fmac_f32 v4, v3, v4 :: v_dual_mov_b32 v3, 0
	v_mul_f32_e32 v7, v6, v4
	s_delay_alu instid0(VALU_DEP_1) | instskip(NEXT) | instid1(VALU_DEP_1)
	v_fma_f32 v8, v5, v7, v6
	v_fmac_f32_e32 v7, v8, v4
	ds_load_b32 v8, v3 offset:64
	v_fmac_f32_e32 v6, v5, v7
	s_delay_alu instid0(VALU_DEP_1) | instskip(NEXT) | instid1(VALU_DEP_1)
	v_div_fmas_f32 v2, v6, v4, v7
	v_div_fixup_f32 v10, v2, s0, 1.0
	s_branch .LBB17_16
.LBB17_14:                              ;   in Loop: Header=BB17_16 Depth=1
	s_or_b32 exec_lo, exec_lo, s0
.LBB17_15:                              ;   in Loop: Header=BB17_16 Depth=1
	s_delay_alu instid0(SALU_CYCLE_1) | instskip(SKIP_1) | instid1(VALU_DEP_1)
	s_or_b32 exec_lo, exec_lo, s6
	v_dual_mov_b32 v5, v3 :: v_dual_add_nc_u32 v0, v0, v1
	v_add_nc_u64_e32 v[4:5], s[8:9], v[4:5]
	s_delay_alu instid0(VALU_DEP_2)
	v_cmp_le_i32_e32 vcc_lo, s11, v0
	s_or_b32 s2, vcc_lo, s2
	global_store_b8 v[4:5], v2, off
	s_wait_xcnt 0x0
	s_and_not1_b32 exec_lo, exec_lo, s2
	s_cbranch_execz .LBB17_27
.LBB17_16:                              ; =>This Inner Loop Header: Depth=1
	v_add_nc_u32_e32 v4, v9, v0
	global_load_u16 v2, v4, s[12:13] scale_offset
	global_load_u16 v5, v0, s[4:5] scale_offset
	s_wait_loadcnt 0x0
	v_dual_lshlrev_b32 v2, 16, v2 :: v_dual_lshlrev_b32 v5, 16, v5
	s_wait_dscnt 0x0
	s_delay_alu instid0(VALU_DEP_1) | instskip(NEXT) | instid1(VALU_DEP_1)
	v_mul_f32_e32 v2, v8, v2
	v_bfe_u32 v6, v2, 16, 1
	v_cmp_o_f32_e32 vcc_lo, v2, v2
	s_delay_alu instid0(VALU_DEP_2) | instskip(NEXT) | instid1(VALU_DEP_1)
	v_add3_u32 v6, v2, v6, 0x7fff
	v_and_b32_e32 v6, 0xffff0000, v6
	s_delay_alu instid0(VALU_DEP_1) | instskip(NEXT) | instid1(VALU_DEP_1)
	v_cndmask_b32_e32 v2, 0x7fc00000, v6, vcc_lo
	v_mul_f32_e32 v2, v2, v5
	s_delay_alu instid0(VALU_DEP_1) | instskip(SKIP_1) | instid1(VALU_DEP_2)
	v_bfe_u32 v5, v2, 16, 1
	v_cmp_o_f32_e32 vcc_lo, v2, v2
	v_add3_u32 v5, v2, v5, 0x7fff
	s_delay_alu instid0(VALU_DEP_1) | instskip(NEXT) | instid1(VALU_DEP_1)
	v_and_b32_e32 v5, 0xffff0000, v5
	v_cndmask_b32_e32 v2, 0x7fc00000, v5, vcc_lo
	s_delay_alu instid0(VALU_DEP_1) | instskip(NEXT) | instid1(VALU_DEP_1)
	v_mul_f32_e32 v2, v10, v2
	v_minmax_num_f32 v5, v2, s3, 0xc3600000
	s_delay_alu instid0(VALU_DEP_1) | instskip(NEXT) | instid1(VALU_DEP_1)
	v_and_b32_e32 v2, 0x7f800000, v5
	v_cmp_ne_u64_e32 vcc_lo, 0x7f800000, v[2:3]
	v_mov_b32_e32 v2, 0x80
	s_wait_xcnt 0x0
	s_and_saveexec_b32 s6, vcc_lo
	s_cbranch_execz .LBB17_15
; %bb.17:                               ;   in Loop: Header=BB17_16 Depth=1
	v_and_b32_e32 v2, 0x7fffffff, v5
	s_delay_alu instid0(VALU_DEP_1) | instskip(SKIP_1) | instid1(SALU_CYCLE_1)
	v_cmp_gt_u64_e32 vcc_lo, 0x43700001, v[2:3]
                                        ; implicit-def: $vgpr2
	s_and_saveexec_b32 s0, vcc_lo
	s_xor_b32 s7, exec_lo, s0
	s_cbranch_execz .LBB17_25
; %bb.18:                               ;   in Loop: Header=BB17_16 Depth=1
	v_mov_b32_e32 v2, 0
	s_mov_b32 s10, exec_lo
	v_cmpx_ne_u32_e32 0, v5
	s_cbranch_execz .LBB17_24
; %bb.19:                               ;   in Loop: Header=BB17_16 Depth=1
	v_bfe_u32 v11, v5, 23, 8
	v_and_b32_e32 v6, 0x7fffff, v5
	s_delay_alu instid0(VALU_DEP_2) | instskip(SKIP_2) | instid1(VALU_DEP_3)
	v_sub_nc_u32_e64 v2, 0x78, v11 clamp
	v_cmp_eq_u32_e32 vcc_lo, 0, v11
	v_add_nc_u32_e32 v11, 0xffffff89, v11
	v_cndmask_b32_e64 v16, v2, 0x77, vcc_lo
	v_or_b32_e32 v2, 0x800000, v6
	s_delay_alu instid0(VALU_DEP_1) | instskip(NEXT) | instid1(VALU_DEP_1)
	v_dual_cndmask_b32 v2, v2, v6 :: v_dual_add_nc_u32 v7, 20, v16
	v_lshlrev_b64_e64 v[6:7], v7, -1
	s_delay_alu instid0(VALU_DEP_2) | instskip(SKIP_1) | instid1(VALU_DEP_1)
	v_lshrrev_b64 v[14:15], v16, v[2:3]
	v_add_nc_u32_e32 v12, 19, v16
	v_lshlrev_b64_e64 v[12:13], v12, 1
	s_delay_alu instid0(VALU_DEP_4) | instskip(SKIP_2) | instid1(VALU_DEP_2)
	v_bfi_b32 v7, v7, 0, 0
	v_bfi_b32 v6, v6, 0, v2
	v_and_b32_e32 v2, 0x100000, v14
	v_cmp_eq_u64_e64 s0, v[6:7], v[12:13]
	s_delay_alu instid0(VALU_DEP_2) | instskip(SKIP_3) | instid1(VALU_DEP_1)
	v_cmp_eq_u64_e64 s1, 0, v[2:3]
	v_cndmask_b32_e64 v2, v11, 0xffffff8a, vcc_lo
	v_lshrrev_b32_e32 v6, 23, v14
                                        ; implicit-def: $vgpr11
	s_and_b32 vcc_lo, s1, s0
	v_add3_u32 v12, v2, v16, v6
	v_subrev_co_ci_u32_e64 v7, null, 0, v14, vcc_lo
	s_mov_b32 s0, exec_lo
	v_and_b32_e32 v2, 0xfffff, v7
	v_add_nc_u32_e32 v13, -1, v12
                                        ; implicit-def: $vgpr6_vgpr7
	s_delay_alu instid0(VALU_DEP_2) | instskip(NEXT) | instid1(VALU_DEP_2)
	v_add_nc_u32_e32 v2, v2, v14
	v_cmpx_ne_u32_e32 0, v13
	s_xor_b32 s0, exec_lo, s0
	s_cbranch_execz .LBB17_21
; %bb.20:                               ;   in Loop: Header=BB17_16 Depth=1
	s_delay_alu instid0(VALU_DEP_2) | instskip(SKIP_2) | instid1(VALU_DEP_2)
	v_and_b32_e32 v14, 0x1000000, v2
	v_mov_b32_e32 v15, v3
	v_bfe_u32 v6, v2, 24, 1
	v_cmp_eq_u64_e32 vcc_lo, 0, v[14:15]
	s_delay_alu instid0(VALU_DEP_2)
	v_lshrrev_b64 v[6:7], v6, v[2:3]
	v_cndmask_b32_e32 v11, v12, v13, vcc_lo
.LBB17_21:                              ;   in Loop: Header=BB17_16 Depth=1
	s_and_not1_saveexec_b32 s0, s0
; %bb.22:                               ;   in Loop: Header=BB17_16 Depth=1
	v_mov_b64_e32 v[6:7], v[2:3]
	v_bfe_u32 v11, v2, 23, 1
; %bb.23:                               ;   in Loop: Header=BB17_16 Depth=1
	s_or_b32 exec_lo, exec_lo, s0
	s_delay_alu instid0(VALU_DEP_2) | instskip(NEXT) | instid1(VALU_DEP_2)
	v_lshrrev_b64 v[6:7], 20, v[6:7]
	v_dual_lshrrev_b32 v2, 24, v5 :: v_dual_min_i32 v5, 15, v11
	v_cmp_gt_i32_e32 vcc_lo, 16, v11
	v_cmp_eq_u32_e64 s0, 0, v11
	s_delay_alu instid0(VALU_DEP_3) | instskip(SKIP_1) | instid1(VALU_DEP_2)
	v_and_b32_e32 v2, 0x80, v2
	v_dual_cndmask_b32 v7, 0, v7 :: v_dual_cndmask_b32 v6, 7, v6
	v_lshl_or_b32 v2, v5, 3, v2
	s_delay_alu instid0(VALU_DEP_2) | instskip(NEXT) | instid1(VALU_DEP_2)
	v_cmp_eq_u64_e32 vcc_lo, 0, v[6:7]
	v_and_or_b32 v2, v6, 7, v2
	s_and_b32 s0, s0, vcc_lo
	s_delay_alu instid0(VALU_DEP_1) | instid1(SALU_CYCLE_1)
	v_cndmask_b32_e64 v2, v2, 0, s0
.LBB17_24:                              ;   in Loop: Header=BB17_16 Depth=1
	s_or_b32 exec_lo, exec_lo, s10
                                        ; implicit-def: $vgpr5
.LBB17_25:                              ;   in Loop: Header=BB17_16 Depth=1
	s_and_not1_saveexec_b32 s0, s7
	s_cbranch_execz .LBB17_14
; %bb.26:                               ;   in Loop: Header=BB17_16 Depth=1
	v_lshrrev_b32_e32 v2, 24, v5
	s_delay_alu instid0(VALU_DEP_1)
	v_or_b32_e32 v2, 0x7f, v2
	s_branch .LBB17_14
.LBB17_27:
	s_endpgm
	.section	.rodata,"a",@progbits
	.p2align	6, 0x0
	.amdhsa_kernel _ZN4vllm42fused_add_rms_norm_static_fp8_quant_kernelIN3c108BFloat16ELi0ENS1_15Float8_e4m3fnuzEEENSt9enable_ifIXooeqT0_Li0Entsr12_typeConvertIT_EE6existsEvE4typeEPT1_PS5_iSA_PKS5_PKffii
		.amdhsa_group_segment_fixed_size 68
		.amdhsa_private_segment_fixed_size 0
		.amdhsa_kernarg_size 320
		.amdhsa_user_sgpr_count 2
		.amdhsa_user_sgpr_dispatch_ptr 0
		.amdhsa_user_sgpr_queue_ptr 0
		.amdhsa_user_sgpr_kernarg_segment_ptr 1
		.amdhsa_user_sgpr_dispatch_id 0
		.amdhsa_user_sgpr_kernarg_preload_length 0
		.amdhsa_user_sgpr_kernarg_preload_offset 0
		.amdhsa_user_sgpr_private_segment_size 0
		.amdhsa_wavefront_size32 1
		.amdhsa_uses_dynamic_stack 0
		.amdhsa_enable_private_segment 0
		.amdhsa_system_sgpr_workgroup_id_x 1
		.amdhsa_system_sgpr_workgroup_id_y 0
		.amdhsa_system_sgpr_workgroup_id_z 0
		.amdhsa_system_sgpr_workgroup_info 0
		.amdhsa_system_vgpr_workitem_id 0
		.amdhsa_next_free_vgpr 17
		.amdhsa_next_free_sgpr 19
		.amdhsa_named_barrier_count 0
		.amdhsa_reserve_vcc 1
		.amdhsa_float_round_mode_32 0
		.amdhsa_float_round_mode_16_64 0
		.amdhsa_float_denorm_mode_32 3
		.amdhsa_float_denorm_mode_16_64 3
		.amdhsa_fp16_overflow 0
		.amdhsa_memory_ordered 1
		.amdhsa_forward_progress 1
		.amdhsa_inst_pref_size 18
		.amdhsa_round_robin_scheduling 0
		.amdhsa_exception_fp_ieee_invalid_op 0
		.amdhsa_exception_fp_denorm_src 0
		.amdhsa_exception_fp_ieee_div_zero 0
		.amdhsa_exception_fp_ieee_overflow 0
		.amdhsa_exception_fp_ieee_underflow 0
		.amdhsa_exception_fp_ieee_inexact 0
		.amdhsa_exception_int_div_zero 0
	.end_amdhsa_kernel
	.section	.text._ZN4vllm42fused_add_rms_norm_static_fp8_quant_kernelIN3c108BFloat16ELi0ENS1_15Float8_e4m3fnuzEEENSt9enable_ifIXooeqT0_Li0Entsr12_typeConvertIT_EE6existsEvE4typeEPT1_PS5_iSA_PKS5_PKffii,"axG",@progbits,_ZN4vllm42fused_add_rms_norm_static_fp8_quant_kernelIN3c108BFloat16ELi0ENS1_15Float8_e4m3fnuzEEENSt9enable_ifIXooeqT0_Li0Entsr12_typeConvertIT_EE6existsEvE4typeEPT1_PS5_iSA_PKS5_PKffii,comdat
.Lfunc_end17:
	.size	_ZN4vllm42fused_add_rms_norm_static_fp8_quant_kernelIN3c108BFloat16ELi0ENS1_15Float8_e4m3fnuzEEENSt9enable_ifIXooeqT0_Li0Entsr12_typeConvertIT_EE6existsEvE4typeEPT1_PS5_iSA_PKS5_PKffii, .Lfunc_end17-_ZN4vllm42fused_add_rms_norm_static_fp8_quant_kernelIN3c108BFloat16ELi0ENS1_15Float8_e4m3fnuzEEENSt9enable_ifIXooeqT0_Li0Entsr12_typeConvertIT_EE6existsEvE4typeEPT1_PS5_iSA_PKS5_PKffii
                                        ; -- End function
	.set _ZN4vllm42fused_add_rms_norm_static_fp8_quant_kernelIN3c108BFloat16ELi0ENS1_15Float8_e4m3fnuzEEENSt9enable_ifIXooeqT0_Li0Entsr12_typeConvertIT_EE6existsEvE4typeEPT1_PS5_iSA_PKS5_PKffii.num_vgpr, 17
	.set _ZN4vllm42fused_add_rms_norm_static_fp8_quant_kernelIN3c108BFloat16ELi0ENS1_15Float8_e4m3fnuzEEENSt9enable_ifIXooeqT0_Li0Entsr12_typeConvertIT_EE6existsEvE4typeEPT1_PS5_iSA_PKS5_PKffii.num_agpr, 0
	.set _ZN4vllm42fused_add_rms_norm_static_fp8_quant_kernelIN3c108BFloat16ELi0ENS1_15Float8_e4m3fnuzEEENSt9enable_ifIXooeqT0_Li0Entsr12_typeConvertIT_EE6existsEvE4typeEPT1_PS5_iSA_PKS5_PKffii.numbered_sgpr, 19
	.set _ZN4vllm42fused_add_rms_norm_static_fp8_quant_kernelIN3c108BFloat16ELi0ENS1_15Float8_e4m3fnuzEEENSt9enable_ifIXooeqT0_Li0Entsr12_typeConvertIT_EE6existsEvE4typeEPT1_PS5_iSA_PKS5_PKffii.num_named_barrier, 0
	.set _ZN4vllm42fused_add_rms_norm_static_fp8_quant_kernelIN3c108BFloat16ELi0ENS1_15Float8_e4m3fnuzEEENSt9enable_ifIXooeqT0_Li0Entsr12_typeConvertIT_EE6existsEvE4typeEPT1_PS5_iSA_PKS5_PKffii.private_seg_size, 0
	.set _ZN4vllm42fused_add_rms_norm_static_fp8_quant_kernelIN3c108BFloat16ELi0ENS1_15Float8_e4m3fnuzEEENSt9enable_ifIXooeqT0_Li0Entsr12_typeConvertIT_EE6existsEvE4typeEPT1_PS5_iSA_PKS5_PKffii.uses_vcc, 1
	.set _ZN4vllm42fused_add_rms_norm_static_fp8_quant_kernelIN3c108BFloat16ELi0ENS1_15Float8_e4m3fnuzEEENSt9enable_ifIXooeqT0_Li0Entsr12_typeConvertIT_EE6existsEvE4typeEPT1_PS5_iSA_PKS5_PKffii.uses_flat_scratch, 0
	.set _ZN4vllm42fused_add_rms_norm_static_fp8_quant_kernelIN3c108BFloat16ELi0ENS1_15Float8_e4m3fnuzEEENSt9enable_ifIXooeqT0_Li0Entsr12_typeConvertIT_EE6existsEvE4typeEPT1_PS5_iSA_PKS5_PKffii.has_dyn_sized_stack, 0
	.set _ZN4vllm42fused_add_rms_norm_static_fp8_quant_kernelIN3c108BFloat16ELi0ENS1_15Float8_e4m3fnuzEEENSt9enable_ifIXooeqT0_Li0Entsr12_typeConvertIT_EE6existsEvE4typeEPT1_PS5_iSA_PKS5_PKffii.has_recursion, 0
	.set _ZN4vllm42fused_add_rms_norm_static_fp8_quant_kernelIN3c108BFloat16ELi0ENS1_15Float8_e4m3fnuzEEENSt9enable_ifIXooeqT0_Li0Entsr12_typeConvertIT_EE6existsEvE4typeEPT1_PS5_iSA_PKS5_PKffii.has_indirect_call, 0
	.section	.AMDGPU.csdata,"",@progbits
; Kernel info:
; codeLenInByte = 2204
; TotalNumSgprs: 21
; NumVgprs: 17
; ScratchSize: 0
; MemoryBound: 0
; FloatMode: 240
; IeeeMode: 1
; LDSByteSize: 68 bytes/workgroup (compile time only)
; SGPRBlocks: 0
; VGPRBlocks: 1
; NumSGPRsForWavesPerEU: 21
; NumVGPRsForWavesPerEU: 17
; NamedBarCnt: 0
; Occupancy: 16
; WaveLimiterHint : 0
; COMPUTE_PGM_RSRC2:SCRATCH_EN: 0
; COMPUTE_PGM_RSRC2:USER_SGPR: 2
; COMPUTE_PGM_RSRC2:TRAP_HANDLER: 0
; COMPUTE_PGM_RSRC2:TGID_X_EN: 1
; COMPUTE_PGM_RSRC2:TGID_Y_EN: 0
; COMPUTE_PGM_RSRC2:TGID_Z_EN: 0
; COMPUTE_PGM_RSRC2:TIDIG_COMP_CNT: 0
	.section	.AMDGPU.gpr_maximums,"",@progbits
	.set amdgpu.max_num_vgpr, 0
	.set amdgpu.max_num_agpr, 0
	.set amdgpu.max_num_sgpr, 0
	.section	.AMDGPU.csdata,"",@progbits
	.type	__hip_cuid_3d27f96ca13ccad9,@object ; @__hip_cuid_3d27f96ca13ccad9
	.section	.bss,"aw",@nobits
	.globl	__hip_cuid_3d27f96ca13ccad9
__hip_cuid_3d27f96ca13ccad9:
	.byte	0                               ; 0x0
	.size	__hip_cuid_3d27f96ca13ccad9, 1

	.ident	"AMD clang version 22.0.0git (https://github.com/RadeonOpenCompute/llvm-project roc-7.2.4 26084 f58b06dce1f9c15707c5f808fd002e18c2accf7e)"
	.section	".note.GNU-stack","",@progbits
	.addrsig
	.addrsig_sym __hip_cuid_3d27f96ca13ccad9
	.amdgpu_metadata
---
amdhsa.kernels:
  - .args:
      - .actual_access:  write_only
        .address_space:  global
        .offset:         0
        .size:           8
        .value_kind:     global_buffer
      - .actual_access:  read_only
        .address_space:  global
        .offset:         8
        .size:           8
        .value_kind:     global_buffer
      - .offset:         16
        .size:           4
        .value_kind:     by_value
      - .actual_access:  read_only
        .address_space:  global
        .offset:         24
        .size:           8
        .value_kind:     global_buffer
      - .actual_access:  read_only
        .address_space:  global
        .offset:         32
        .size:           8
        .value_kind:     global_buffer
      - .offset:         40
        .size:           4
        .value_kind:     by_value
      - .offset:         44
        .size:           4
        .value_kind:     by_value
      - .offset:         48
        .size:           4
        .value_kind:     by_value
      - .offset:         56
        .size:           4
        .value_kind:     hidden_block_count_x
      - .offset:         60
        .size:           4
        .value_kind:     hidden_block_count_y
      - .offset:         64
        .size:           4
        .value_kind:     hidden_block_count_z
      - .offset:         68
        .size:           2
        .value_kind:     hidden_group_size_x
      - .offset:         70
        .size:           2
        .value_kind:     hidden_group_size_y
      - .offset:         72
        .size:           2
        .value_kind:     hidden_group_size_z
      - .offset:         74
        .size:           2
        .value_kind:     hidden_remainder_x
      - .offset:         76
        .size:           2
        .value_kind:     hidden_remainder_y
      - .offset:         78
        .size:           2
        .value_kind:     hidden_remainder_z
      - .offset:         96
        .size:           8
        .value_kind:     hidden_global_offset_x
      - .offset:         104
        .size:           8
        .value_kind:     hidden_global_offset_y
      - .offset:         112
        .size:           8
        .value_kind:     hidden_global_offset_z
      - .offset:         120
        .size:           2
        .value_kind:     hidden_grid_dims
    .group_segment_fixed_size: 68
    .kernarg_segment_align: 8
    .kernarg_segment_size: 312
    .language:       OpenCL C
    .language_version:
      - 2
      - 0
    .max_flat_workgroup_size: 1024
    .name:           _ZN4vllm32rms_norm_static_fp8_quant_kernelIfN3c1013Float8_e4m3fnEEEvPT0_PKT_iS7_PKffii
    .private_segment_fixed_size: 0
    .sgpr_count:     20
    .sgpr_spill_count: 0
    .symbol:         _ZN4vllm32rms_norm_static_fp8_quant_kernelIfN3c1013Float8_e4m3fnEEEvPT0_PKT_iS7_PKffii.kd
    .uniform_work_group_size: 1
    .uses_dynamic_stack: false
    .vgpr_count:     17
    .vgpr_spill_count: 0
    .wavefront_size: 32
  - .args:
      - .actual_access:  write_only
        .address_space:  global
        .offset:         0
        .size:           8
        .value_kind:     global_buffer
      - .actual_access:  read_only
        .address_space:  global
        .offset:         8
        .size:           8
        .value_kind:     global_buffer
      - .offset:         16
        .size:           4
        .value_kind:     by_value
      - .actual_access:  read_only
        .address_space:  global
        .offset:         24
        .size:           8
        .value_kind:     global_buffer
      - .actual_access:  read_only
        .address_space:  global
        .offset:         32
        .size:           8
        .value_kind:     global_buffer
      - .offset:         40
        .size:           4
        .value_kind:     by_value
      - .offset:         44
        .size:           4
        .value_kind:     by_value
      - .offset:         48
        .size:           4
        .value_kind:     by_value
      - .offset:         56
        .size:           4
        .value_kind:     hidden_block_count_x
      - .offset:         60
        .size:           4
        .value_kind:     hidden_block_count_y
      - .offset:         64
        .size:           4
        .value_kind:     hidden_block_count_z
      - .offset:         68
        .size:           2
        .value_kind:     hidden_group_size_x
      - .offset:         70
        .size:           2
        .value_kind:     hidden_group_size_y
      - .offset:         72
        .size:           2
        .value_kind:     hidden_group_size_z
      - .offset:         74
        .size:           2
        .value_kind:     hidden_remainder_x
      - .offset:         76
        .size:           2
        .value_kind:     hidden_remainder_y
      - .offset:         78
        .size:           2
        .value_kind:     hidden_remainder_z
      - .offset:         96
        .size:           8
        .value_kind:     hidden_global_offset_x
      - .offset:         104
        .size:           8
        .value_kind:     hidden_global_offset_y
      - .offset:         112
        .size:           8
        .value_kind:     hidden_global_offset_z
      - .offset:         120
        .size:           2
        .value_kind:     hidden_grid_dims
    .group_segment_fixed_size: 68
    .kernarg_segment_align: 8
    .kernarg_segment_size: 312
    .language:       OpenCL C
    .language_version:
      - 2
      - 0
    .max_flat_workgroup_size: 1024
    .name:           _ZN4vllm32rms_norm_static_fp8_quant_kernelIfN3c1015Float8_e4m3fnuzEEEvPT0_PKT_iS7_PKffii
    .private_segment_fixed_size: 0
    .sgpr_count:     20
    .sgpr_spill_count: 0
    .symbol:         _ZN4vllm32rms_norm_static_fp8_quant_kernelIfN3c1015Float8_e4m3fnuzEEEvPT0_PKT_iS7_PKffii.kd
    .uniform_work_group_size: 1
    .uses_dynamic_stack: false
    .vgpr_count:     17
    .vgpr_spill_count: 0
    .wavefront_size: 32
  - .args:
      - .actual_access:  write_only
        .address_space:  global
        .offset:         0
        .size:           8
        .value_kind:     global_buffer
      - .actual_access:  read_only
        .address_space:  global
        .offset:         8
        .size:           8
        .value_kind:     global_buffer
      - .offset:         16
        .size:           4
        .value_kind:     by_value
      - .actual_access:  read_only
        .address_space:  global
        .offset:         24
        .size:           8
        .value_kind:     global_buffer
      - .actual_access:  read_only
        .address_space:  global
        .offset:         32
        .size:           8
        .value_kind:     global_buffer
      - .offset:         40
        .size:           4
        .value_kind:     by_value
      - .offset:         44
        .size:           4
        .value_kind:     by_value
      - .offset:         48
        .size:           4
        .value_kind:     by_value
      - .offset:         56
        .size:           4
        .value_kind:     hidden_block_count_x
      - .offset:         60
        .size:           4
        .value_kind:     hidden_block_count_y
      - .offset:         64
        .size:           4
        .value_kind:     hidden_block_count_z
      - .offset:         68
        .size:           2
        .value_kind:     hidden_group_size_x
      - .offset:         70
        .size:           2
        .value_kind:     hidden_group_size_y
      - .offset:         72
        .size:           2
        .value_kind:     hidden_group_size_z
      - .offset:         74
        .size:           2
        .value_kind:     hidden_remainder_x
      - .offset:         76
        .size:           2
        .value_kind:     hidden_remainder_y
      - .offset:         78
        .size:           2
        .value_kind:     hidden_remainder_z
      - .offset:         96
        .size:           8
        .value_kind:     hidden_global_offset_x
      - .offset:         104
        .size:           8
        .value_kind:     hidden_global_offset_y
      - .offset:         112
        .size:           8
        .value_kind:     hidden_global_offset_z
      - .offset:         120
        .size:           2
        .value_kind:     hidden_grid_dims
    .group_segment_fixed_size: 68
    .kernarg_segment_align: 8
    .kernarg_segment_size: 312
    .language:       OpenCL C
    .language_version:
      - 2
      - 0
    .max_flat_workgroup_size: 1024
    .name:           _ZN4vllm32rms_norm_static_fp8_quant_kernelIN3c104HalfENS1_13Float8_e4m3fnEEEvPT0_PKT_iS8_PKffii
    .private_segment_fixed_size: 0
    .sgpr_count:     20
    .sgpr_spill_count: 0
    .symbol:         _ZN4vllm32rms_norm_static_fp8_quant_kernelIN3c104HalfENS1_13Float8_e4m3fnEEEvPT0_PKT_iS8_PKffii.kd
    .uniform_work_group_size: 1
    .uses_dynamic_stack: false
    .vgpr_count:     17
    .vgpr_spill_count: 0
    .wavefront_size: 32
  - .args:
      - .actual_access:  write_only
        .address_space:  global
        .offset:         0
        .size:           8
        .value_kind:     global_buffer
      - .actual_access:  read_only
        .address_space:  global
        .offset:         8
        .size:           8
        .value_kind:     global_buffer
      - .offset:         16
        .size:           4
        .value_kind:     by_value
      - .actual_access:  read_only
        .address_space:  global
        .offset:         24
        .size:           8
        .value_kind:     global_buffer
      - .actual_access:  read_only
        .address_space:  global
        .offset:         32
        .size:           8
        .value_kind:     global_buffer
      - .offset:         40
        .size:           4
        .value_kind:     by_value
      - .offset:         44
        .size:           4
        .value_kind:     by_value
      - .offset:         48
        .size:           4
        .value_kind:     by_value
      - .offset:         56
        .size:           4
        .value_kind:     hidden_block_count_x
      - .offset:         60
        .size:           4
        .value_kind:     hidden_block_count_y
      - .offset:         64
        .size:           4
        .value_kind:     hidden_block_count_z
      - .offset:         68
        .size:           2
        .value_kind:     hidden_group_size_x
      - .offset:         70
        .size:           2
        .value_kind:     hidden_group_size_y
      - .offset:         72
        .size:           2
        .value_kind:     hidden_group_size_z
      - .offset:         74
        .size:           2
        .value_kind:     hidden_remainder_x
      - .offset:         76
        .size:           2
        .value_kind:     hidden_remainder_y
      - .offset:         78
        .size:           2
        .value_kind:     hidden_remainder_z
      - .offset:         96
        .size:           8
        .value_kind:     hidden_global_offset_x
      - .offset:         104
        .size:           8
        .value_kind:     hidden_global_offset_y
      - .offset:         112
        .size:           8
        .value_kind:     hidden_global_offset_z
      - .offset:         120
        .size:           2
        .value_kind:     hidden_grid_dims
    .group_segment_fixed_size: 68
    .kernarg_segment_align: 8
    .kernarg_segment_size: 312
    .language:       OpenCL C
    .language_version:
      - 2
      - 0
    .max_flat_workgroup_size: 1024
    .name:           _ZN4vllm32rms_norm_static_fp8_quant_kernelIN3c104HalfENS1_15Float8_e4m3fnuzEEEvPT0_PKT_iS8_PKffii
    .private_segment_fixed_size: 0
    .sgpr_count:     20
    .sgpr_spill_count: 0
    .symbol:         _ZN4vllm32rms_norm_static_fp8_quant_kernelIN3c104HalfENS1_15Float8_e4m3fnuzEEEvPT0_PKT_iS8_PKffii.kd
    .uniform_work_group_size: 1
    .uses_dynamic_stack: false
    .vgpr_count:     17
    .vgpr_spill_count: 0
    .wavefront_size: 32
  - .args:
      - .actual_access:  write_only
        .address_space:  global
        .offset:         0
        .size:           8
        .value_kind:     global_buffer
      - .actual_access:  read_only
        .address_space:  global
        .offset:         8
        .size:           8
        .value_kind:     global_buffer
      - .offset:         16
        .size:           4
        .value_kind:     by_value
      - .actual_access:  read_only
        .address_space:  global
        .offset:         24
        .size:           8
        .value_kind:     global_buffer
      - .actual_access:  read_only
        .address_space:  global
        .offset:         32
        .size:           8
        .value_kind:     global_buffer
      - .offset:         40
        .size:           4
        .value_kind:     by_value
      - .offset:         44
        .size:           4
        .value_kind:     by_value
      - .offset:         48
        .size:           4
        .value_kind:     by_value
      - .offset:         56
        .size:           4
        .value_kind:     hidden_block_count_x
      - .offset:         60
        .size:           4
        .value_kind:     hidden_block_count_y
      - .offset:         64
        .size:           4
        .value_kind:     hidden_block_count_z
      - .offset:         68
        .size:           2
        .value_kind:     hidden_group_size_x
      - .offset:         70
        .size:           2
        .value_kind:     hidden_group_size_y
      - .offset:         72
        .size:           2
        .value_kind:     hidden_group_size_z
      - .offset:         74
        .size:           2
        .value_kind:     hidden_remainder_x
      - .offset:         76
        .size:           2
        .value_kind:     hidden_remainder_y
      - .offset:         78
        .size:           2
        .value_kind:     hidden_remainder_z
      - .offset:         96
        .size:           8
        .value_kind:     hidden_global_offset_x
      - .offset:         104
        .size:           8
        .value_kind:     hidden_global_offset_y
      - .offset:         112
        .size:           8
        .value_kind:     hidden_global_offset_z
      - .offset:         120
        .size:           2
        .value_kind:     hidden_grid_dims
    .group_segment_fixed_size: 68
    .kernarg_segment_align: 8
    .kernarg_segment_size: 312
    .language:       OpenCL C
    .language_version:
      - 2
      - 0
    .max_flat_workgroup_size: 1024
    .name:           _ZN4vllm32rms_norm_static_fp8_quant_kernelIN3c108BFloat16ENS1_13Float8_e4m3fnEEEvPT0_PKT_iS8_PKffii
    .private_segment_fixed_size: 0
    .sgpr_count:     20
    .sgpr_spill_count: 0
    .symbol:         _ZN4vllm32rms_norm_static_fp8_quant_kernelIN3c108BFloat16ENS1_13Float8_e4m3fnEEEvPT0_PKT_iS8_PKffii.kd
    .uniform_work_group_size: 1
    .uses_dynamic_stack: false
    .vgpr_count:     17
    .vgpr_spill_count: 0
    .wavefront_size: 32
  - .args:
      - .actual_access:  write_only
        .address_space:  global
        .offset:         0
        .size:           8
        .value_kind:     global_buffer
      - .actual_access:  read_only
        .address_space:  global
        .offset:         8
        .size:           8
        .value_kind:     global_buffer
      - .offset:         16
        .size:           4
        .value_kind:     by_value
      - .actual_access:  read_only
        .address_space:  global
        .offset:         24
        .size:           8
        .value_kind:     global_buffer
      - .actual_access:  read_only
        .address_space:  global
        .offset:         32
        .size:           8
        .value_kind:     global_buffer
      - .offset:         40
        .size:           4
        .value_kind:     by_value
      - .offset:         44
        .size:           4
        .value_kind:     by_value
      - .offset:         48
        .size:           4
        .value_kind:     by_value
      - .offset:         56
        .size:           4
        .value_kind:     hidden_block_count_x
      - .offset:         60
        .size:           4
        .value_kind:     hidden_block_count_y
      - .offset:         64
        .size:           4
        .value_kind:     hidden_block_count_z
      - .offset:         68
        .size:           2
        .value_kind:     hidden_group_size_x
      - .offset:         70
        .size:           2
        .value_kind:     hidden_group_size_y
      - .offset:         72
        .size:           2
        .value_kind:     hidden_group_size_z
      - .offset:         74
        .size:           2
        .value_kind:     hidden_remainder_x
      - .offset:         76
        .size:           2
        .value_kind:     hidden_remainder_y
      - .offset:         78
        .size:           2
        .value_kind:     hidden_remainder_z
      - .offset:         96
        .size:           8
        .value_kind:     hidden_global_offset_x
      - .offset:         104
        .size:           8
        .value_kind:     hidden_global_offset_y
      - .offset:         112
        .size:           8
        .value_kind:     hidden_global_offset_z
      - .offset:         120
        .size:           2
        .value_kind:     hidden_grid_dims
    .group_segment_fixed_size: 68
    .kernarg_segment_align: 8
    .kernarg_segment_size: 312
    .language:       OpenCL C
    .language_version:
      - 2
      - 0
    .max_flat_workgroup_size: 1024
    .name:           _ZN4vllm32rms_norm_static_fp8_quant_kernelIN3c108BFloat16ENS1_15Float8_e4m3fnuzEEEvPT0_PKT_iS8_PKffii
    .private_segment_fixed_size: 0
    .sgpr_count:     20
    .sgpr_spill_count: 0
    .symbol:         _ZN4vllm32rms_norm_static_fp8_quant_kernelIN3c108BFloat16ENS1_15Float8_e4m3fnuzEEEvPT0_PKT_iS8_PKffii.kd
    .uniform_work_group_size: 1
    .uses_dynamic_stack: false
    .vgpr_count:     17
    .vgpr_spill_count: 0
    .wavefront_size: 32
  - .args:
      - .actual_access:  write_only
        .address_space:  global
        .offset:         0
        .size:           8
        .value_kind:     global_buffer
      - .actual_access:  read_only
        .address_space:  global
        .offset:         8
        .size:           8
        .value_kind:     global_buffer
      - .offset:         16
        .size:           4
        .value_kind:     by_value
      - .address_space:  global
        .offset:         24
        .size:           8
        .value_kind:     global_buffer
      - .actual_access:  read_only
        .address_space:  global
        .offset:         32
        .size:           8
        .value_kind:     global_buffer
      - .actual_access:  read_only
        .address_space:  global
        .offset:         40
        .size:           8
        .value_kind:     global_buffer
      - .offset:         48
        .size:           4
        .value_kind:     by_value
      - .offset:         52
        .size:           4
        .value_kind:     by_value
      - .offset:         56
        .size:           4
        .value_kind:     by_value
      - .offset:         64
        .size:           4
        .value_kind:     hidden_block_count_x
      - .offset:         68
        .size:           4
        .value_kind:     hidden_block_count_y
      - .offset:         72
        .size:           4
        .value_kind:     hidden_block_count_z
      - .offset:         76
        .size:           2
        .value_kind:     hidden_group_size_x
      - .offset:         78
        .size:           2
        .value_kind:     hidden_group_size_y
      - .offset:         80
        .size:           2
        .value_kind:     hidden_group_size_z
      - .offset:         82
        .size:           2
        .value_kind:     hidden_remainder_x
      - .offset:         84
        .size:           2
        .value_kind:     hidden_remainder_y
      - .offset:         86
        .size:           2
        .value_kind:     hidden_remainder_z
      - .offset:         104
        .size:           8
        .value_kind:     hidden_global_offset_x
      - .offset:         112
        .size:           8
        .value_kind:     hidden_global_offset_y
      - .offset:         120
        .size:           8
        .value_kind:     hidden_global_offset_z
      - .offset:         128
        .size:           2
        .value_kind:     hidden_grid_dims
    .group_segment_fixed_size: 68
    .kernarg_segment_align: 8
    .kernarg_segment_size: 320
    .language:       OpenCL C
    .language_version:
      - 2
      - 0
    .max_flat_workgroup_size: 1024
    .name:           _ZN4vllm42fused_add_rms_norm_static_fp8_quant_kernelIfLi8EN3c1013Float8_e4m3fnEEENSt9enable_ifIXooeqT0_Li0Entsr12_typeConvertIT_EE6existsEvE4typeEPT1_PS4_iS9_PKS4_PKffii
    .private_segment_fixed_size: 0
    .sgpr_count:     21
    .sgpr_spill_count: 0
    .symbol:         _ZN4vllm42fused_add_rms_norm_static_fp8_quant_kernelIfLi8EN3c1013Float8_e4m3fnEEENSt9enable_ifIXooeqT0_Li0Entsr12_typeConvertIT_EE6existsEvE4typeEPT1_PS4_iS9_PKS4_PKffii.kd
    .uniform_work_group_size: 1
    .uses_dynamic_stack: false
    .vgpr_count:     17
    .vgpr_spill_count: 0
    .wavefront_size: 32
  - .args:
      - .actual_access:  write_only
        .address_space:  global
        .offset:         0
        .size:           8
        .value_kind:     global_buffer
      - .actual_access:  read_only
        .address_space:  global
        .offset:         8
        .size:           8
        .value_kind:     global_buffer
      - .offset:         16
        .size:           4
        .value_kind:     by_value
      - .address_space:  global
        .offset:         24
        .size:           8
        .value_kind:     global_buffer
      - .actual_access:  read_only
        .address_space:  global
        .offset:         32
        .size:           8
        .value_kind:     global_buffer
      - .actual_access:  read_only
        .address_space:  global
        .offset:         40
        .size:           8
        .value_kind:     global_buffer
      - .offset:         48
        .size:           4
        .value_kind:     by_value
      - .offset:         52
        .size:           4
        .value_kind:     by_value
      - .offset:         56
        .size:           4
        .value_kind:     by_value
      - .offset:         64
        .size:           4
        .value_kind:     hidden_block_count_x
      - .offset:         68
        .size:           4
        .value_kind:     hidden_block_count_y
      - .offset:         72
        .size:           4
        .value_kind:     hidden_block_count_z
      - .offset:         76
        .size:           2
        .value_kind:     hidden_group_size_x
      - .offset:         78
        .size:           2
        .value_kind:     hidden_group_size_y
      - .offset:         80
        .size:           2
        .value_kind:     hidden_group_size_z
      - .offset:         82
        .size:           2
        .value_kind:     hidden_remainder_x
      - .offset:         84
        .size:           2
        .value_kind:     hidden_remainder_y
      - .offset:         86
        .size:           2
        .value_kind:     hidden_remainder_z
      - .offset:         104
        .size:           8
        .value_kind:     hidden_global_offset_x
      - .offset:         112
        .size:           8
        .value_kind:     hidden_global_offset_y
      - .offset:         120
        .size:           8
        .value_kind:     hidden_global_offset_z
      - .offset:         128
        .size:           2
        .value_kind:     hidden_grid_dims
    .group_segment_fixed_size: 68
    .kernarg_segment_align: 8
    .kernarg_segment_size: 320
    .language:       OpenCL C
    .language_version:
      - 2
      - 0
    .max_flat_workgroup_size: 1024
    .name:           _ZN4vllm42fused_add_rms_norm_static_fp8_quant_kernelIfLi8EN3c1015Float8_e4m3fnuzEEENSt9enable_ifIXooeqT0_Li0Entsr12_typeConvertIT_EE6existsEvE4typeEPT1_PS4_iS9_PKS4_PKffii
    .private_segment_fixed_size: 0
    .sgpr_count:     21
    .sgpr_spill_count: 0
    .symbol:         _ZN4vllm42fused_add_rms_norm_static_fp8_quant_kernelIfLi8EN3c1015Float8_e4m3fnuzEEENSt9enable_ifIXooeqT0_Li0Entsr12_typeConvertIT_EE6existsEvE4typeEPT1_PS4_iS9_PKS4_PKffii.kd
    .uniform_work_group_size: 1
    .uses_dynamic_stack: false
    .vgpr_count:     17
    .vgpr_spill_count: 0
    .wavefront_size: 32
  - .args:
      - .actual_access:  write_only
        .address_space:  global
        .offset:         0
        .size:           8
        .value_kind:     global_buffer
      - .actual_access:  read_only
        .address_space:  global
        .offset:         8
        .size:           8
        .value_kind:     global_buffer
      - .offset:         16
        .size:           4
        .value_kind:     by_value
      - .address_space:  global
        .offset:         24
        .size:           8
        .value_kind:     global_buffer
      - .actual_access:  read_only
        .address_space:  global
        .offset:         32
        .size:           8
        .value_kind:     global_buffer
      - .actual_access:  read_only
        .address_space:  global
        .offset:         40
        .size:           8
        .value_kind:     global_buffer
      - .offset:         48
        .size:           4
        .value_kind:     by_value
      - .offset:         52
        .size:           4
        .value_kind:     by_value
      - .offset:         56
        .size:           4
        .value_kind:     by_value
      - .offset:         64
        .size:           4
        .value_kind:     hidden_block_count_x
      - .offset:         68
        .size:           4
        .value_kind:     hidden_block_count_y
      - .offset:         72
        .size:           4
        .value_kind:     hidden_block_count_z
      - .offset:         76
        .size:           2
        .value_kind:     hidden_group_size_x
      - .offset:         78
        .size:           2
        .value_kind:     hidden_group_size_y
      - .offset:         80
        .size:           2
        .value_kind:     hidden_group_size_z
      - .offset:         82
        .size:           2
        .value_kind:     hidden_remainder_x
      - .offset:         84
        .size:           2
        .value_kind:     hidden_remainder_y
      - .offset:         86
        .size:           2
        .value_kind:     hidden_remainder_z
      - .offset:         104
        .size:           8
        .value_kind:     hidden_global_offset_x
      - .offset:         112
        .size:           8
        .value_kind:     hidden_global_offset_y
      - .offset:         120
        .size:           8
        .value_kind:     hidden_global_offset_z
      - .offset:         128
        .size:           2
        .value_kind:     hidden_grid_dims
    .group_segment_fixed_size: 68
    .kernarg_segment_align: 8
    .kernarg_segment_size: 320
    .language:       OpenCL C
    .language_version:
      - 2
      - 0
    .max_flat_workgroup_size: 1024
    .name:           _ZN4vllm42fused_add_rms_norm_static_fp8_quant_kernelIN3c104HalfELi8ENS1_13Float8_e4m3fnEEENSt9enable_ifIXaagtT0_Li0Esr12_typeConvertIT_EE6existsEvE4typeEPT1_PS5_iSA_PKS5_PKffii
    .private_segment_fixed_size: 0
    .sgpr_count:     21
    .sgpr_spill_count: 0
    .symbol:         _ZN4vllm42fused_add_rms_norm_static_fp8_quant_kernelIN3c104HalfELi8ENS1_13Float8_e4m3fnEEENSt9enable_ifIXaagtT0_Li0Esr12_typeConvertIT_EE6existsEvE4typeEPT1_PS5_iSA_PKS5_PKffii.kd
    .uniform_work_group_size: 1
    .uses_dynamic_stack: false
    .vgpr_count:     29
    .vgpr_spill_count: 0
    .wavefront_size: 32
  - .args:
      - .actual_access:  write_only
        .address_space:  global
        .offset:         0
        .size:           8
        .value_kind:     global_buffer
      - .actual_access:  read_only
        .address_space:  global
        .offset:         8
        .size:           8
        .value_kind:     global_buffer
      - .offset:         16
        .size:           4
        .value_kind:     by_value
      - .address_space:  global
        .offset:         24
        .size:           8
        .value_kind:     global_buffer
      - .actual_access:  read_only
        .address_space:  global
        .offset:         32
        .size:           8
        .value_kind:     global_buffer
      - .actual_access:  read_only
        .address_space:  global
        .offset:         40
        .size:           8
        .value_kind:     global_buffer
      - .offset:         48
        .size:           4
        .value_kind:     by_value
      - .offset:         52
        .size:           4
        .value_kind:     by_value
      - .offset:         56
        .size:           4
        .value_kind:     by_value
      - .offset:         64
        .size:           4
        .value_kind:     hidden_block_count_x
      - .offset:         68
        .size:           4
        .value_kind:     hidden_block_count_y
      - .offset:         72
        .size:           4
        .value_kind:     hidden_block_count_z
      - .offset:         76
        .size:           2
        .value_kind:     hidden_group_size_x
      - .offset:         78
        .size:           2
        .value_kind:     hidden_group_size_y
      - .offset:         80
        .size:           2
        .value_kind:     hidden_group_size_z
      - .offset:         82
        .size:           2
        .value_kind:     hidden_remainder_x
      - .offset:         84
        .size:           2
        .value_kind:     hidden_remainder_y
      - .offset:         86
        .size:           2
        .value_kind:     hidden_remainder_z
      - .offset:         104
        .size:           8
        .value_kind:     hidden_global_offset_x
      - .offset:         112
        .size:           8
        .value_kind:     hidden_global_offset_y
      - .offset:         120
        .size:           8
        .value_kind:     hidden_global_offset_z
      - .offset:         128
        .size:           2
        .value_kind:     hidden_grid_dims
    .group_segment_fixed_size: 68
    .kernarg_segment_align: 8
    .kernarg_segment_size: 320
    .language:       OpenCL C
    .language_version:
      - 2
      - 0
    .max_flat_workgroup_size: 1024
    .name:           _ZN4vllm42fused_add_rms_norm_static_fp8_quant_kernelIN3c104HalfELi8ENS1_15Float8_e4m3fnuzEEENSt9enable_ifIXaagtT0_Li0Esr12_typeConvertIT_EE6existsEvE4typeEPT1_PS5_iSA_PKS5_PKffii
    .private_segment_fixed_size: 0
    .sgpr_count:     21
    .sgpr_spill_count: 0
    .symbol:         _ZN4vllm42fused_add_rms_norm_static_fp8_quant_kernelIN3c104HalfELi8ENS1_15Float8_e4m3fnuzEEENSt9enable_ifIXaagtT0_Li0Esr12_typeConvertIT_EE6existsEvE4typeEPT1_PS5_iSA_PKS5_PKffii.kd
    .uniform_work_group_size: 1
    .uses_dynamic_stack: false
    .vgpr_count:     30
    .vgpr_spill_count: 0
    .wavefront_size: 32
  - .args:
      - .actual_access:  write_only
        .address_space:  global
        .offset:         0
        .size:           8
        .value_kind:     global_buffer
      - .actual_access:  read_only
        .address_space:  global
        .offset:         8
        .size:           8
        .value_kind:     global_buffer
      - .offset:         16
        .size:           4
        .value_kind:     by_value
      - .address_space:  global
        .offset:         24
        .size:           8
        .value_kind:     global_buffer
      - .actual_access:  read_only
        .address_space:  global
        .offset:         32
        .size:           8
        .value_kind:     global_buffer
      - .actual_access:  read_only
        .address_space:  global
        .offset:         40
        .size:           8
        .value_kind:     global_buffer
      - .offset:         48
        .size:           4
        .value_kind:     by_value
      - .offset:         52
        .size:           4
        .value_kind:     by_value
      - .offset:         56
        .size:           4
        .value_kind:     by_value
      - .offset:         64
        .size:           4
        .value_kind:     hidden_block_count_x
      - .offset:         68
        .size:           4
        .value_kind:     hidden_block_count_y
      - .offset:         72
        .size:           4
        .value_kind:     hidden_block_count_z
      - .offset:         76
        .size:           2
        .value_kind:     hidden_group_size_x
      - .offset:         78
        .size:           2
        .value_kind:     hidden_group_size_y
      - .offset:         80
        .size:           2
        .value_kind:     hidden_group_size_z
      - .offset:         82
        .size:           2
        .value_kind:     hidden_remainder_x
      - .offset:         84
        .size:           2
        .value_kind:     hidden_remainder_y
      - .offset:         86
        .size:           2
        .value_kind:     hidden_remainder_z
      - .offset:         104
        .size:           8
        .value_kind:     hidden_global_offset_x
      - .offset:         112
        .size:           8
        .value_kind:     hidden_global_offset_y
      - .offset:         120
        .size:           8
        .value_kind:     hidden_global_offset_z
      - .offset:         128
        .size:           2
        .value_kind:     hidden_grid_dims
    .group_segment_fixed_size: 68
    .kernarg_segment_align: 8
    .kernarg_segment_size: 320
    .language:       OpenCL C
    .language_version:
      - 2
      - 0
    .max_flat_workgroup_size: 1024
    .name:           _ZN4vllm42fused_add_rms_norm_static_fp8_quant_kernelIN3c108BFloat16ELi8ENS1_13Float8_e4m3fnEEENSt9enable_ifIXooeqT0_Li0Entsr12_typeConvertIT_EE6existsEvE4typeEPT1_PS5_iSA_PKS5_PKffii
    .private_segment_fixed_size: 0
    .sgpr_count:     21
    .sgpr_spill_count: 0
    .symbol:         _ZN4vllm42fused_add_rms_norm_static_fp8_quant_kernelIN3c108BFloat16ELi8ENS1_13Float8_e4m3fnEEENSt9enable_ifIXooeqT0_Li0Entsr12_typeConvertIT_EE6existsEvE4typeEPT1_PS5_iSA_PKS5_PKffii.kd
    .uniform_work_group_size: 1
    .uses_dynamic_stack: false
    .vgpr_count:     17
    .vgpr_spill_count: 0
    .wavefront_size: 32
  - .args:
      - .actual_access:  write_only
        .address_space:  global
        .offset:         0
        .size:           8
        .value_kind:     global_buffer
      - .actual_access:  read_only
        .address_space:  global
        .offset:         8
        .size:           8
        .value_kind:     global_buffer
      - .offset:         16
        .size:           4
        .value_kind:     by_value
      - .address_space:  global
        .offset:         24
        .size:           8
        .value_kind:     global_buffer
      - .actual_access:  read_only
        .address_space:  global
        .offset:         32
        .size:           8
        .value_kind:     global_buffer
      - .actual_access:  read_only
        .address_space:  global
        .offset:         40
        .size:           8
        .value_kind:     global_buffer
      - .offset:         48
        .size:           4
        .value_kind:     by_value
      - .offset:         52
        .size:           4
        .value_kind:     by_value
      - .offset:         56
        .size:           4
        .value_kind:     by_value
      - .offset:         64
        .size:           4
        .value_kind:     hidden_block_count_x
      - .offset:         68
        .size:           4
        .value_kind:     hidden_block_count_y
      - .offset:         72
        .size:           4
        .value_kind:     hidden_block_count_z
      - .offset:         76
        .size:           2
        .value_kind:     hidden_group_size_x
      - .offset:         78
        .size:           2
        .value_kind:     hidden_group_size_y
      - .offset:         80
        .size:           2
        .value_kind:     hidden_group_size_z
      - .offset:         82
        .size:           2
        .value_kind:     hidden_remainder_x
      - .offset:         84
        .size:           2
        .value_kind:     hidden_remainder_y
      - .offset:         86
        .size:           2
        .value_kind:     hidden_remainder_z
      - .offset:         104
        .size:           8
        .value_kind:     hidden_global_offset_x
      - .offset:         112
        .size:           8
        .value_kind:     hidden_global_offset_y
      - .offset:         120
        .size:           8
        .value_kind:     hidden_global_offset_z
      - .offset:         128
        .size:           2
        .value_kind:     hidden_grid_dims
    .group_segment_fixed_size: 68
    .kernarg_segment_align: 8
    .kernarg_segment_size: 320
    .language:       OpenCL C
    .language_version:
      - 2
      - 0
    .max_flat_workgroup_size: 1024
    .name:           _ZN4vllm42fused_add_rms_norm_static_fp8_quant_kernelIN3c108BFloat16ELi8ENS1_15Float8_e4m3fnuzEEENSt9enable_ifIXooeqT0_Li0Entsr12_typeConvertIT_EE6existsEvE4typeEPT1_PS5_iSA_PKS5_PKffii
    .private_segment_fixed_size: 0
    .sgpr_count:     21
    .sgpr_spill_count: 0
    .symbol:         _ZN4vllm42fused_add_rms_norm_static_fp8_quant_kernelIN3c108BFloat16ELi8ENS1_15Float8_e4m3fnuzEEENSt9enable_ifIXooeqT0_Li0Entsr12_typeConvertIT_EE6existsEvE4typeEPT1_PS5_iSA_PKS5_PKffii.kd
    .uniform_work_group_size: 1
    .uses_dynamic_stack: false
    .vgpr_count:     17
    .vgpr_spill_count: 0
    .wavefront_size: 32
  - .args:
      - .actual_access:  write_only
        .address_space:  global
        .offset:         0
        .size:           8
        .value_kind:     global_buffer
      - .actual_access:  read_only
        .address_space:  global
        .offset:         8
        .size:           8
        .value_kind:     global_buffer
      - .offset:         16
        .size:           4
        .value_kind:     by_value
      - .address_space:  global
        .offset:         24
        .size:           8
        .value_kind:     global_buffer
      - .actual_access:  read_only
        .address_space:  global
        .offset:         32
        .size:           8
        .value_kind:     global_buffer
      - .actual_access:  read_only
        .address_space:  global
        .offset:         40
        .size:           8
        .value_kind:     global_buffer
      - .offset:         48
        .size:           4
        .value_kind:     by_value
      - .offset:         52
        .size:           4
        .value_kind:     by_value
      - .offset:         56
        .size:           4
        .value_kind:     by_value
      - .offset:         64
        .size:           4
        .value_kind:     hidden_block_count_x
      - .offset:         68
        .size:           4
        .value_kind:     hidden_block_count_y
      - .offset:         72
        .size:           4
        .value_kind:     hidden_block_count_z
      - .offset:         76
        .size:           2
        .value_kind:     hidden_group_size_x
      - .offset:         78
        .size:           2
        .value_kind:     hidden_group_size_y
      - .offset:         80
        .size:           2
        .value_kind:     hidden_group_size_z
      - .offset:         82
        .size:           2
        .value_kind:     hidden_remainder_x
      - .offset:         84
        .size:           2
        .value_kind:     hidden_remainder_y
      - .offset:         86
        .size:           2
        .value_kind:     hidden_remainder_z
      - .offset:         104
        .size:           8
        .value_kind:     hidden_global_offset_x
      - .offset:         112
        .size:           8
        .value_kind:     hidden_global_offset_y
      - .offset:         120
        .size:           8
        .value_kind:     hidden_global_offset_z
      - .offset:         128
        .size:           2
        .value_kind:     hidden_grid_dims
    .group_segment_fixed_size: 68
    .kernarg_segment_align: 8
    .kernarg_segment_size: 320
    .language:       OpenCL C
    .language_version:
      - 2
      - 0
    .max_flat_workgroup_size: 1024
    .name:           _ZN4vllm42fused_add_rms_norm_static_fp8_quant_kernelIfLi0EN3c1013Float8_e4m3fnEEENSt9enable_ifIXooeqT0_Li0Entsr12_typeConvertIT_EE6existsEvE4typeEPT1_PS4_iS9_PKS4_PKffii
    .private_segment_fixed_size: 0
    .sgpr_count:     21
    .sgpr_spill_count: 0
    .symbol:         _ZN4vllm42fused_add_rms_norm_static_fp8_quant_kernelIfLi0EN3c1013Float8_e4m3fnEEENSt9enable_ifIXooeqT0_Li0Entsr12_typeConvertIT_EE6existsEvE4typeEPT1_PS4_iS9_PKS4_PKffii.kd
    .uniform_work_group_size: 1
    .uses_dynamic_stack: false
    .vgpr_count:     17
    .vgpr_spill_count: 0
    .wavefront_size: 32
  - .args:
      - .actual_access:  write_only
        .address_space:  global
        .offset:         0
        .size:           8
        .value_kind:     global_buffer
      - .actual_access:  read_only
        .address_space:  global
        .offset:         8
        .size:           8
        .value_kind:     global_buffer
      - .offset:         16
        .size:           4
        .value_kind:     by_value
      - .address_space:  global
        .offset:         24
        .size:           8
        .value_kind:     global_buffer
      - .actual_access:  read_only
        .address_space:  global
        .offset:         32
        .size:           8
        .value_kind:     global_buffer
      - .actual_access:  read_only
        .address_space:  global
        .offset:         40
        .size:           8
        .value_kind:     global_buffer
      - .offset:         48
        .size:           4
        .value_kind:     by_value
      - .offset:         52
        .size:           4
        .value_kind:     by_value
      - .offset:         56
        .size:           4
        .value_kind:     by_value
      - .offset:         64
        .size:           4
        .value_kind:     hidden_block_count_x
      - .offset:         68
        .size:           4
        .value_kind:     hidden_block_count_y
      - .offset:         72
        .size:           4
        .value_kind:     hidden_block_count_z
      - .offset:         76
        .size:           2
        .value_kind:     hidden_group_size_x
      - .offset:         78
        .size:           2
        .value_kind:     hidden_group_size_y
      - .offset:         80
        .size:           2
        .value_kind:     hidden_group_size_z
      - .offset:         82
        .size:           2
        .value_kind:     hidden_remainder_x
      - .offset:         84
        .size:           2
        .value_kind:     hidden_remainder_y
      - .offset:         86
        .size:           2
        .value_kind:     hidden_remainder_z
      - .offset:         104
        .size:           8
        .value_kind:     hidden_global_offset_x
      - .offset:         112
        .size:           8
        .value_kind:     hidden_global_offset_y
      - .offset:         120
        .size:           8
        .value_kind:     hidden_global_offset_z
      - .offset:         128
        .size:           2
        .value_kind:     hidden_grid_dims
    .group_segment_fixed_size: 68
    .kernarg_segment_align: 8
    .kernarg_segment_size: 320
    .language:       OpenCL C
    .language_version:
      - 2
      - 0
    .max_flat_workgroup_size: 1024
    .name:           _ZN4vllm42fused_add_rms_norm_static_fp8_quant_kernelIfLi0EN3c1015Float8_e4m3fnuzEEENSt9enable_ifIXooeqT0_Li0Entsr12_typeConvertIT_EE6existsEvE4typeEPT1_PS4_iS9_PKS4_PKffii
    .private_segment_fixed_size: 0
    .sgpr_count:     21
    .sgpr_spill_count: 0
    .symbol:         _ZN4vllm42fused_add_rms_norm_static_fp8_quant_kernelIfLi0EN3c1015Float8_e4m3fnuzEEENSt9enable_ifIXooeqT0_Li0Entsr12_typeConvertIT_EE6existsEvE4typeEPT1_PS4_iS9_PKS4_PKffii.kd
    .uniform_work_group_size: 1
    .uses_dynamic_stack: false
    .vgpr_count:     17
    .vgpr_spill_count: 0
    .wavefront_size: 32
  - .args:
      - .actual_access:  write_only
        .address_space:  global
        .offset:         0
        .size:           8
        .value_kind:     global_buffer
      - .actual_access:  read_only
        .address_space:  global
        .offset:         8
        .size:           8
        .value_kind:     global_buffer
      - .offset:         16
        .size:           4
        .value_kind:     by_value
      - .address_space:  global
        .offset:         24
        .size:           8
        .value_kind:     global_buffer
      - .actual_access:  read_only
        .address_space:  global
        .offset:         32
        .size:           8
        .value_kind:     global_buffer
      - .actual_access:  read_only
        .address_space:  global
        .offset:         40
        .size:           8
        .value_kind:     global_buffer
      - .offset:         48
        .size:           4
        .value_kind:     by_value
      - .offset:         52
        .size:           4
        .value_kind:     by_value
      - .offset:         56
        .size:           4
        .value_kind:     by_value
      - .offset:         64
        .size:           4
        .value_kind:     hidden_block_count_x
      - .offset:         68
        .size:           4
        .value_kind:     hidden_block_count_y
      - .offset:         72
        .size:           4
        .value_kind:     hidden_block_count_z
      - .offset:         76
        .size:           2
        .value_kind:     hidden_group_size_x
      - .offset:         78
        .size:           2
        .value_kind:     hidden_group_size_y
      - .offset:         80
        .size:           2
        .value_kind:     hidden_group_size_z
      - .offset:         82
        .size:           2
        .value_kind:     hidden_remainder_x
      - .offset:         84
        .size:           2
        .value_kind:     hidden_remainder_y
      - .offset:         86
        .size:           2
        .value_kind:     hidden_remainder_z
      - .offset:         104
        .size:           8
        .value_kind:     hidden_global_offset_x
      - .offset:         112
        .size:           8
        .value_kind:     hidden_global_offset_y
      - .offset:         120
        .size:           8
        .value_kind:     hidden_global_offset_z
      - .offset:         128
        .size:           2
        .value_kind:     hidden_grid_dims
    .group_segment_fixed_size: 68
    .kernarg_segment_align: 8
    .kernarg_segment_size: 320
    .language:       OpenCL C
    .language_version:
      - 2
      - 0
    .max_flat_workgroup_size: 1024
    .name:           _ZN4vllm42fused_add_rms_norm_static_fp8_quant_kernelIN3c104HalfELi0ENS1_13Float8_e4m3fnEEENSt9enable_ifIXooeqT0_Li0Entsr12_typeConvertIT_EE6existsEvE4typeEPT1_PS5_iSA_PKS5_PKffii
    .private_segment_fixed_size: 0
    .sgpr_count:     21
    .sgpr_spill_count: 0
    .symbol:         _ZN4vllm42fused_add_rms_norm_static_fp8_quant_kernelIN3c104HalfELi0ENS1_13Float8_e4m3fnEEENSt9enable_ifIXooeqT0_Li0Entsr12_typeConvertIT_EE6existsEvE4typeEPT1_PS5_iSA_PKS5_PKffii.kd
    .uniform_work_group_size: 1
    .uses_dynamic_stack: false
    .vgpr_count:     17
    .vgpr_spill_count: 0
    .wavefront_size: 32
  - .args:
      - .actual_access:  write_only
        .address_space:  global
        .offset:         0
        .size:           8
        .value_kind:     global_buffer
      - .actual_access:  read_only
        .address_space:  global
        .offset:         8
        .size:           8
        .value_kind:     global_buffer
      - .offset:         16
        .size:           4
        .value_kind:     by_value
      - .address_space:  global
        .offset:         24
        .size:           8
        .value_kind:     global_buffer
      - .actual_access:  read_only
        .address_space:  global
        .offset:         32
        .size:           8
        .value_kind:     global_buffer
      - .actual_access:  read_only
        .address_space:  global
        .offset:         40
        .size:           8
        .value_kind:     global_buffer
      - .offset:         48
        .size:           4
        .value_kind:     by_value
      - .offset:         52
        .size:           4
        .value_kind:     by_value
      - .offset:         56
        .size:           4
        .value_kind:     by_value
      - .offset:         64
        .size:           4
        .value_kind:     hidden_block_count_x
      - .offset:         68
        .size:           4
        .value_kind:     hidden_block_count_y
      - .offset:         72
        .size:           4
        .value_kind:     hidden_block_count_z
      - .offset:         76
        .size:           2
        .value_kind:     hidden_group_size_x
      - .offset:         78
        .size:           2
        .value_kind:     hidden_group_size_y
      - .offset:         80
        .size:           2
        .value_kind:     hidden_group_size_z
      - .offset:         82
        .size:           2
        .value_kind:     hidden_remainder_x
      - .offset:         84
        .size:           2
        .value_kind:     hidden_remainder_y
      - .offset:         86
        .size:           2
        .value_kind:     hidden_remainder_z
      - .offset:         104
        .size:           8
        .value_kind:     hidden_global_offset_x
      - .offset:         112
        .size:           8
        .value_kind:     hidden_global_offset_y
      - .offset:         120
        .size:           8
        .value_kind:     hidden_global_offset_z
      - .offset:         128
        .size:           2
        .value_kind:     hidden_grid_dims
    .group_segment_fixed_size: 68
    .kernarg_segment_align: 8
    .kernarg_segment_size: 320
    .language:       OpenCL C
    .language_version:
      - 2
      - 0
    .max_flat_workgroup_size: 1024
    .name:           _ZN4vllm42fused_add_rms_norm_static_fp8_quant_kernelIN3c104HalfELi0ENS1_15Float8_e4m3fnuzEEENSt9enable_ifIXooeqT0_Li0Entsr12_typeConvertIT_EE6existsEvE4typeEPT1_PS5_iSA_PKS5_PKffii
    .private_segment_fixed_size: 0
    .sgpr_count:     21
    .sgpr_spill_count: 0
    .symbol:         _ZN4vllm42fused_add_rms_norm_static_fp8_quant_kernelIN3c104HalfELi0ENS1_15Float8_e4m3fnuzEEENSt9enable_ifIXooeqT0_Li0Entsr12_typeConvertIT_EE6existsEvE4typeEPT1_PS5_iSA_PKS5_PKffii.kd
    .uniform_work_group_size: 1
    .uses_dynamic_stack: false
    .vgpr_count:     17
    .vgpr_spill_count: 0
    .wavefront_size: 32
  - .args:
      - .actual_access:  write_only
        .address_space:  global
        .offset:         0
        .size:           8
        .value_kind:     global_buffer
      - .actual_access:  read_only
        .address_space:  global
        .offset:         8
        .size:           8
        .value_kind:     global_buffer
      - .offset:         16
        .size:           4
        .value_kind:     by_value
      - .address_space:  global
        .offset:         24
        .size:           8
        .value_kind:     global_buffer
      - .actual_access:  read_only
        .address_space:  global
        .offset:         32
        .size:           8
        .value_kind:     global_buffer
      - .actual_access:  read_only
        .address_space:  global
        .offset:         40
        .size:           8
        .value_kind:     global_buffer
      - .offset:         48
        .size:           4
        .value_kind:     by_value
      - .offset:         52
        .size:           4
        .value_kind:     by_value
      - .offset:         56
        .size:           4
        .value_kind:     by_value
      - .offset:         64
        .size:           4
        .value_kind:     hidden_block_count_x
      - .offset:         68
        .size:           4
        .value_kind:     hidden_block_count_y
      - .offset:         72
        .size:           4
        .value_kind:     hidden_block_count_z
      - .offset:         76
        .size:           2
        .value_kind:     hidden_group_size_x
      - .offset:         78
        .size:           2
        .value_kind:     hidden_group_size_y
      - .offset:         80
        .size:           2
        .value_kind:     hidden_group_size_z
      - .offset:         82
        .size:           2
        .value_kind:     hidden_remainder_x
      - .offset:         84
        .size:           2
        .value_kind:     hidden_remainder_y
      - .offset:         86
        .size:           2
        .value_kind:     hidden_remainder_z
      - .offset:         104
        .size:           8
        .value_kind:     hidden_global_offset_x
      - .offset:         112
        .size:           8
        .value_kind:     hidden_global_offset_y
      - .offset:         120
        .size:           8
        .value_kind:     hidden_global_offset_z
      - .offset:         128
        .size:           2
        .value_kind:     hidden_grid_dims
    .group_segment_fixed_size: 68
    .kernarg_segment_align: 8
    .kernarg_segment_size: 320
    .language:       OpenCL C
    .language_version:
      - 2
      - 0
    .max_flat_workgroup_size: 1024
    .name:           _ZN4vllm42fused_add_rms_norm_static_fp8_quant_kernelIN3c108BFloat16ELi0ENS1_13Float8_e4m3fnEEENSt9enable_ifIXooeqT0_Li0Entsr12_typeConvertIT_EE6existsEvE4typeEPT1_PS5_iSA_PKS5_PKffii
    .private_segment_fixed_size: 0
    .sgpr_count:     21
    .sgpr_spill_count: 0
    .symbol:         _ZN4vllm42fused_add_rms_norm_static_fp8_quant_kernelIN3c108BFloat16ELi0ENS1_13Float8_e4m3fnEEENSt9enable_ifIXooeqT0_Li0Entsr12_typeConvertIT_EE6existsEvE4typeEPT1_PS5_iSA_PKS5_PKffii.kd
    .uniform_work_group_size: 1
    .uses_dynamic_stack: false
    .vgpr_count:     17
    .vgpr_spill_count: 0
    .wavefront_size: 32
  - .args:
      - .actual_access:  write_only
        .address_space:  global
        .offset:         0
        .size:           8
        .value_kind:     global_buffer
      - .actual_access:  read_only
        .address_space:  global
        .offset:         8
        .size:           8
        .value_kind:     global_buffer
      - .offset:         16
        .size:           4
        .value_kind:     by_value
      - .address_space:  global
        .offset:         24
        .size:           8
        .value_kind:     global_buffer
      - .actual_access:  read_only
        .address_space:  global
        .offset:         32
        .size:           8
        .value_kind:     global_buffer
      - .actual_access:  read_only
        .address_space:  global
        .offset:         40
        .size:           8
        .value_kind:     global_buffer
      - .offset:         48
        .size:           4
        .value_kind:     by_value
      - .offset:         52
        .size:           4
        .value_kind:     by_value
      - .offset:         56
        .size:           4
        .value_kind:     by_value
      - .offset:         64
        .size:           4
        .value_kind:     hidden_block_count_x
      - .offset:         68
        .size:           4
        .value_kind:     hidden_block_count_y
      - .offset:         72
        .size:           4
        .value_kind:     hidden_block_count_z
      - .offset:         76
        .size:           2
        .value_kind:     hidden_group_size_x
      - .offset:         78
        .size:           2
        .value_kind:     hidden_group_size_y
      - .offset:         80
        .size:           2
        .value_kind:     hidden_group_size_z
      - .offset:         82
        .size:           2
        .value_kind:     hidden_remainder_x
      - .offset:         84
        .size:           2
        .value_kind:     hidden_remainder_y
      - .offset:         86
        .size:           2
        .value_kind:     hidden_remainder_z
      - .offset:         104
        .size:           8
        .value_kind:     hidden_global_offset_x
      - .offset:         112
        .size:           8
        .value_kind:     hidden_global_offset_y
      - .offset:         120
        .size:           8
        .value_kind:     hidden_global_offset_z
      - .offset:         128
        .size:           2
        .value_kind:     hidden_grid_dims
    .group_segment_fixed_size: 68
    .kernarg_segment_align: 8
    .kernarg_segment_size: 320
    .language:       OpenCL C
    .language_version:
      - 2
      - 0
    .max_flat_workgroup_size: 1024
    .name:           _ZN4vllm42fused_add_rms_norm_static_fp8_quant_kernelIN3c108BFloat16ELi0ENS1_15Float8_e4m3fnuzEEENSt9enable_ifIXooeqT0_Li0Entsr12_typeConvertIT_EE6existsEvE4typeEPT1_PS5_iSA_PKS5_PKffii
    .private_segment_fixed_size: 0
    .sgpr_count:     21
    .sgpr_spill_count: 0
    .symbol:         _ZN4vllm42fused_add_rms_norm_static_fp8_quant_kernelIN3c108BFloat16ELi0ENS1_15Float8_e4m3fnuzEEENSt9enable_ifIXooeqT0_Li0Entsr12_typeConvertIT_EE6existsEvE4typeEPT1_PS5_iSA_PKS5_PKffii.kd
    .uniform_work_group_size: 1
    .uses_dynamic_stack: false
    .vgpr_count:     17
    .vgpr_spill_count: 0
    .wavefront_size: 32
amdhsa.target:   amdgcn-amd-amdhsa--gfx1250
amdhsa.version:
  - 1
  - 2
...

	.end_amdgpu_metadata
